;; amdgpu-corpus repo=ROCm/Tensile kind=harvested arch=n/a opt=n/a

/******************************************/
/* Function Prefix                        */
/******************************************/



/******************************************/
/* Begin Kernel                           */
/******************************************/

// Component.Signature.SignatureDefault
.amdgcn_target "amdgcn-amd-amdhsa--gfx90a"
.text
.protected Cijk_Ailk_Bjlk_BBS_BH_MT128x256x32_MI32x32x8x1_SN_1LDSB1_APM1_AF0EM1_AF1EM1_AMAS3_ASGT_ASLT_ASAE01_ASCE01_ASEM1_BL1_BS1_CLR0_DTLA0_DTLB0_DTVA0_DVO0_EPS1_FL0_GLVWA8_GLVWB8_GRVW8_GSU1_GSUASB_GLS0_ISA90a_IU1_K1_KLA_LBSPPA0_LBSPPB0_LPA0_LPB0_LDL1_LRVW4_LDW0_FMA_MIAV1_MMFGLC_NTA0_NTB0_NTC3_NTD3_NEPBS0_NLCA1_NLCB1_ONLL1_OPLV0_PK0_PAP0_PGR1_PLR5_SIA3_SS1_SU0_SUM0_SUS0_SCIUI1_SPO0_SRVW0_SSO0_SVW2_SNLL0_TT2_128_TLDS0_UMLDSA0_UMLDSB0_USFGROn1_VAW1_VSn1_VW2_VWB2_VFLRP0_WSGRA0_WSGRB0_WG64_4_1_WGM2
.globl Cijk_Ailk_Bjlk_BBS_BH_MT128x256x32_MI32x32x8x1_SN_1LDSB1_APM1_AF0EM1_AF1EM1_AMAS3_ASGT_ASLT_ASAE01_ASCE01_ASEM1_BL1_BS1_CLR0_DTLA0_DTLB0_DTVA0_DVO0_EPS1_FL0_GLVWA8_GLVWB8_GRVW8_GSU1_GSUASB_GLS0_ISA90a_IU1_K1_KLA_LBSPPA0_LBSPPB0_LPA0_LPB0_LDL1_LRVW4_LDW0_FMA_MIAV1_MMFGLC_NTA0_NTB0_NTC3_NTD3_NEPBS0_NLCA1_NLCB1_ONLL1_OPLV0_PK0_PAP0_PGR1_PLR5_SIA3_SS1_SU0_SUM0_SUS0_SCIUI1_SPO0_SRVW0_SSO0_SVW2_SNLL0_TT2_128_TLDS0_UMLDSA0_UMLDSB0_USFGROn1_VAW1_VSn1_VW2_VWB2_VFLRP0_WSGRA0_WSGRB0_WG64_4_1_WGM2
.p2align 8
.type Cijk_Ailk_Bjlk_BBS_BH_MT128x256x32_MI32x32x8x1_SN_1LDSB1_APM1_AF0EM1_AF1EM1_AMAS3_ASGT_ASLT_ASAE01_ASCE01_ASEM1_BL1_BS1_CLR0_DTLA0_DTLB0_DTVA0_DVO0_EPS1_FL0_GLVWA8_GLVWB8_GRVW8_GSU1_GSUASB_GLS0_ISA90a_IU1_K1_KLA_LBSPPA0_LBSPPB0_LPA0_LPB0_LDL1_LRVW4_LDW0_FMA_MIAV1_MMFGLC_NTA0_NTB0_NTC3_NTD3_NEPBS0_NLCA1_NLCB1_ONLL1_OPLV0_PK0_PAP0_PGR1_PLR5_SIA3_SS1_SU0_SUM0_SUS0_SCIUI1_SPO0_SRVW0_SSO0_SVW2_SNLL0_TT2_128_TLDS0_UMLDSA0_UMLDSB0_USFGROn1_VAW1_VSn1_VW2_VWB2_VFLRP0_WSGRA0_WSGRB0_WG64_4_1_WGM2,@function
.section .rodata,#alloc
.p2align 6
.amdhsa_kernel Cijk_Ailk_Bjlk_BBS_BH_MT128x256x32_MI32x32x8x1_SN_1LDSB1_APM1_AF0EM1_AF1EM1_AMAS3_ASGT_ASLT_ASAE01_ASCE01_ASEM1_BL1_BS1_CLR0_DTLA0_DTLB0_DTVA0_DVO0_EPS1_FL0_GLVWA8_GLVWB8_GRVW8_GSU1_GSUASB_GLS0_ISA90a_IU1_K1_KLA_LBSPPA0_LBSPPB0_LPA0_LPB0_LDL1_LRVW4_LDW0_FMA_MIAV1_MMFGLC_NTA0_NTB0_NTC3_NTD3_NEPBS0_NLCA1_NLCB1_ONLL1_OPLV0_PK0_PAP0_PGR1_PLR5_SIA3_SS1_SU0_SUM0_SUS0_SCIUI1_SPO0_SRVW0_SSO0_SVW2_SNLL0_TT2_128_TLDS0_UMLDSA0_UMLDSB0_USFGROn1_VAW1_VSn1_VW2_VWB2_VFLRP0_WSGRA0_WSGRB0_WG64_4_1_WGM2
  .amdhsa_user_sgpr_kernarg_segment_ptr 1
  .amdhsa_user_sgpr_kernarg_preload_offset 0
  .amdhsa_user_sgpr_kernarg_preload_length 0
  .amdhsa_user_sgpr_count 2
  .amdhsa_accum_offset 256 // accvgpr offset
  .amdhsa_next_free_vgpr 256 // vgprs
  .amdhsa_next_free_sgpr 58 // sgprs
  .amdhsa_group_segment_fixed_size 24576 // lds bytes
  .amdhsa_private_segment_fixed_size 0
  .amdhsa_system_sgpr_workgroup_id_x 1
  .amdhsa_system_sgpr_workgroup_id_y 1
  .amdhsa_system_sgpr_workgroup_id_z 1
  .amdhsa_system_vgpr_workitem_id 0
  .amdhsa_float_denorm_mode_32 3
  .amdhsa_float_denorm_mode_16_64 3
.end_amdhsa_kernel
.text

/******************************************/
/* Optimizations and Config:              */
/******************************************/
/* ThreadTile= 32 x 4 */
/* SubGroup= 4 x 64 */
/* VectorWidthA=2 */
/* VectorWidthB=2 */
/* GlobalLoadVectorWidthA=8, GlobalLoadVectorWidthB=8 */
/* DirectToLdsA=False */
/* DirectToLdsB=False */
/* UseSgprForGRO=False */
.amdgpu_metadata
---
amdhsa.version:
  - 1
  - 1
amdhsa.target: amdgcn-amd-amdhsa--gfx90a
amdhsa.kernels:
  - .name: Cijk_Ailk_Bjlk_BBS_BH_MT128x256x32_MI32x32x8x1_SN_1LDSB1_APM1_AF0EM1_AF1EM1_AMAS3_ASGT_ASLT_ASAE01_ASCE01_ASEM1_BL1_BS1_CLR0_DTLA0_DTLB0_DTVA0_DVO0_EPS1_FL0_GLVWA8_GLVWB8_GRVW8_GSU1_GSUASB_GLS0_ISA90a_IU1_K1_KLA_LBSPPA0_LBSPPB0_LPA0_LPB0_LDL1_LRVW4_LDW0_FMA_MIAV1_MMFGLC_NTA0_NTB0_NTC3_NTD3_NEPBS0_NLCA1_NLCB1_ONLL1_OPLV0_PK0_PAP0_PGR1_PLR5_SIA3_SS1_SU0_SUM0_SUS0_SCIUI1_SPO0_SRVW0_SSO0_SVW2_SNLL0_TT2_128_TLDS0_UMLDSA0_UMLDSB0_USFGROn1_VAW1_VSn1_VW2_VWB2_VFLRP0_WSGRA0_WSGRB0_WG64_4_1_WGM2
    .symbol: 'Cijk_Ailk_Bjlk_BBS_BH_MT128x256x32_MI32x32x8x1_SN_1LDSB1_APM1_AF0EM1_AF1EM1_AMAS3_ASGT_ASLT_ASAE01_ASCE01_ASEM1_BL1_BS1_CLR0_DTLA0_DTLB0_DTVA0_DVO0_EPS1_FL0_GLVWA8_GLVWB8_GRVW8_GSU1_GSUASB_GLS0_ISA90a_IU1_K1_KLA_LBSPPA0_LBSPPB0_LPA0_LPB0_LDL1_LRVW4_LDW0_FMA_MIAV1_MMFGLC_NTA0_NTB0_NTC3_NTD3_NEPBS0_NLCA1_NLCB1_ONLL1_OPLV0_PK0_PAP0_PGR1_PLR5_SIA3_SS1_SU0_SUM0_SUS0_SCIUI1_SPO0_SRVW0_SSO0_SVW2_SNLL0_TT2_128_TLDS0_UMLDSA0_UMLDSB0_USFGROn1_VAW1_VSn1_VW2_VWB2_VFLRP0_WSGRA0_WSGRB0_WG64_4_1_WGM2.kd'
    .language:                   OpenCL C
    .language_version:
      - 2
      - 0
    .args:
      - .name:            Tensor2dSizeA
        .size:            8
        .offset:          0
        .value_kind:      by_value
        .value_type:      u64
      - .name:            Tensor2dSizeB
        .size:            8
        .offset:          8
        .value_kind:      by_value
        .value_type:      u64
      - .name:            AddressD
        .size:            8
        .offset:          16
        .value_kind:      by_value
        .value_type:      u64
      - .name:            AddressC
        .size:            8
        .offset:          24
        .value_kind:      by_value
        .value_type:      u64
      - .name:            AddressA
        .size:            8
        .offset:          32
        .value_kind:      by_value
        .value_type:      u64
      - .name:            AddressB
        .size:            8
        .offset:          40
        .value_kind:      by_value
        .value_type:      u64
      - .name:            Alpha
        .size:            4
        .offset:          48
        .value_kind:      by_value
        .value_type:      u32
      - .name:            Beta
        .size:            4
        .offset:          52
        .value_kind:      by_value
        .value_type:      u32
      - .name:            StridesD
        .size:            8
        .offset:          56
        .value_kind:      by_value
        .value_type:      u64
      - .name:            StridesC
        .size:            8
        .offset:          64
        .value_kind:      by_value
        .value_type:      u64
      - .name:            StridesA
        .size:            8
        .offset:          72
        .value_kind:      by_value
        .value_type:      u64
      - .name:            StridesB
        .size:            8
        .offset:          80
        .value_kind:      by_value
        .value_type:      u64
      - .name:            SizesFree
        .size:            12
        .offset:          88
        .value_kind:      by_value
        .value_type:      u96
      - .name:            SizesSum
        .size:            4
        .offset:          100
        .value_kind:      by_value
        .value_type:      u32
      - .name:            NumWorkGroups0
        .size:            4
        .offset:          104
        .value_kind:      by_value
        .value_type:      u32
      - .name:            NumWorkGroups1
        .size:            4
        .offset:          108
        .value_kind:      by_value
        .value_type:      u32
      - .name:            NumFullBlocks
        .size:            4
        .offset:          112
        .value_kind:      by_value
        .value_type:      u32
      - .name:            WgmRemainder1
        .size:            4
        .offset:          116
        .value_kind:      by_value
        .value_type:      u32
      - .name:            MagicNumberWgmRemainder1
        .size:            4
        .offset:          120
        .value_kind:      by_value
        .value_type:      u32
    .group_segment_fixed_size:   24576
    .kernarg_segment_align:      8
    .kernarg_segment_size:       128
    .max_flat_workgroup_size:    256
    .private_segment_fixed_size: 0
    .sgpr_count:                 58
    .sgpr_spill_count:           0
    .vgpr_count:                 256
    .vgpr_spill_count:           0
    .wavefront_size:             64
...
.end_amdgpu_metadata
Cijk_Ailk_Bjlk_BBS_BH_MT128x256x32_MI32x32x8x1_SN_1LDSB1_APM1_AF0EM1_AF1EM1_AMAS3_ASGT_ASLT_ASAE01_ASCE01_ASEM1_BL1_BS1_CLR0_DTLA0_DTLB0_DTVA0_DVO0_EPS1_FL0_GLVWA8_GLVWB8_GRVW8_GSU1_GSUASB_GLS0_ISA90a_IU1_K1_KLA_LBSPPA0_LBSPPB0_LPA0_LPB0_LDL1_LRVW4_LDW0_FMA_MIAV1_MMFGLC_NTA0_NTB0_NTC3_NTD3_NEPBS0_NLCA1_NLCB1_ONLL1_OPLV0_PK0_PAP0_PGR1_PLR5_SIA3_SS1_SU0_SUM0_SUS0_SCIUI1_SPO0_SRVW0_SSO0_SVW2_SNLL0_TT2_128_TLDS0_UMLDSA0_UMLDSB0_USFGROn1_VAW1_VSn1_VW2_VWB2_VFLRP0_WSGRA0_WSGRB0_WG64_4_1_WGM2:

/******************************************/
/* Asm syntax workarounds                 */
/******************************************/
.macro _v_add_co_u32 dst:req, cc:req, src0:req, src1:req, dpp=
   v_add_co_u32 \dst, \cc, \src0, \src1 \dpp
.endm

.macro _v_add_u32 dst:req, src0:req, src1:req, dpp=
   v_add_u32 \dst, \src0, \src1 \dpp
.endm

.macro _v_add_i32 dst:req, src0:req, src1:req, dpp=
   v_add_i32 \dst, \src0, \src1 \dpp
.endm

.macro _v_addc_co_u32 dst:req, ccOut:req, src0:req, ccIn:req, src1:req, dpp=
   v_addc_co_u32 \dst, \ccOut, \src0, \ccIn, \src1 \dpp
.endm

.macro _v_sub_co_u32 dst:req, cc:req, src0:req, src1:req, dpp=
   v_sub_co_u32 \dst, \cc, \src0, \src1 \dpp
.endm

.macro _v_sub_u32 dst:req, src0:req, src1:req, dpp=
   v_sub_u32 \dst, \src0, \src1 \dpp
.endm

.macro _v_sub_i32 dst:req, src0:req, src1:req, dpp=
   v_sub_i32 \dst, \src0, \src1 \dpp
.endm

.macro _v_add_lshl_u32 dst:req, src0:req, src1:req, shiftCnt:req
    v_add_lshl_u32 \dst, \src0, \src1, \shiftCnt
.endm

.macro _v_lshl_add_u32 dst:req, src0:req, src1:req, shiftCnt:req
    v_lshl_add_u32 \dst, \src0, \src1, \shiftCnt
.endm

.macro _v_lshl_or_b32 dst:req, src0:req, shiftCnt:req, src1:req
    v_lshl_or_b32 \dst, \src0, \shiftCnt, \src1
.endm

.macro _v_dot2acc_f32_f16 dst, src0, src1
v_dot2c_f32_f16 \dst, \src0, \src1
.endm

.macro _v_cmpx_lt_i16 dst, src0, src1=
   v_cmpx_lt_i16 \dst, \src0, \src1 
.endm

.macro _v_cmpx_lt_i32 dst, src0, src1=
   v_cmpx_lt_i32 \dst, \src0, \src1 
.endm

.macro _v_cmpx_lt_i64 dst, src0, src1=
   v_cmpx_lt_i64 \dst, \src0, \src1 
.endm

.macro _v_cmpx_lt_u16 dst, src0, src1=
   v_cmpx_lt_u16 \dst, \src0, \src1 
.endm

.macro _v_cmpx_lt_u32 dst, src0, src1=
   v_cmpx_lt_u32 \dst, \src0, \src1 
.endm

.macro _v_cmpx_lt_u64 dst, src0, src1=
   v_cmpx_lt_u64 \dst, \src0, \src1 
.endm

.macro _v_cmpx_eq_i16 dst, src0, src1=
   v_cmpx_eq_i16 \dst, \src0, \src1 
.endm

.macro _v_cmpx_eq_i32 dst, src0, src1=
   v_cmpx_eq_i32 \dst, \src0, \src1 
.endm

.macro _v_cmpx_eq_i64 dst, src0, src1=
   v_cmpx_eq_i64 \dst, \src0, \src1 
.endm

.macro _v_cmpx_eq_u16 dst, src0, src1=
   v_cmpx_eq_u16 \dst, \src0, \src1 
.endm

.macro _v_cmpx_eq_u32 dst, src0, src1=
   v_cmpx_eq_u32 \dst, \src0, \src1 
.endm

.macro _v_cmpx_eq_u64 dst, src0, src1=
   v_cmpx_eq_u64 \dst, \src0, \src1 
.endm

.macro _v_cmpx_le_i16 dst, src0, src1=
   v_cmpx_le_i16 \dst, \src0, \src1 
.endm

.macro _v_cmpx_le_i32 dst, src0, src1=
   v_cmpx_le_i32 \dst, \src0, \src1 
.endm

.macro _v_cmpx_le_i64 dst, src0, src1=
   v_cmpx_le_i64 \dst, \src0, \src1 
.endm

.macro _v_cmpx_le_u16 dst, src0, src1=
   v_cmpx_le_u16 \dst, \src0, \src1 
.endm

.macro _v_cmpx_le_u32 dst, src0, src1=
   v_cmpx_le_u32 \dst, \src0, \src1 
.endm

.macro _v_cmpx_le_u64 dst, src0, src1=
   v_cmpx_le_u64 \dst, \src0, \src1 
.endm

.macro _v_cmpx_gt_i16 dst, src0, src1=
   v_cmpx_gt_i16 \dst, \src0, \src1 
.endm

.macro _v_cmpx_gt_i32 dst, src0, src1=
   v_cmpx_gt_i32 \dst, \src0, \src1 
.endm

.macro _v_cmpx_gt_i64 dst, src0, src1=
   v_cmpx_gt_i64 \dst, \src0, \src1 
.endm

.macro _v_cmpx_gt_u16 dst, src0, src1=
   v_cmpx_gt_u16 \dst, \src0, \src1 
.endm

.macro _v_cmpx_gt_u32 dst, src0, src1=
   v_cmpx_gt_u32 \dst, \src0, \src1 
.endm

.macro _v_cmpx_gt_u64 dst, src0, src1=
   v_cmpx_gt_u64 \dst, \src0, \src1 
.endm

.macro _v_cmpx_ne_i16 dst, src0, src1=
   v_cmpx_ne_i16 \dst, \src0, \src1 
.endm

.macro _v_cmpx_ne_i32 dst, src0, src1=
   v_cmpx_ne_i32 \dst, \src0, \src1 
.endm

.macro _v_cmpx_ne_i64 dst, src0, src1=
   v_cmpx_ne_i64 \dst, \src0, \src1 
.endm

.macro _v_cmpx_ne_u16 dst, src0, src1=
   v_cmpx_ne_u16 \dst, \src0, \src1 
.endm

.macro _v_cmpx_ne_u32 dst, src0, src1=
   v_cmpx_ne_u32 \dst, \src0, \src1 
.endm

.macro _v_cmpx_ne_u64 dst, src0, src1=
   v_cmpx_ne_u64 \dst, \src0, \src1 
.endm

.macro _v_cmpx_lg_i16 dst, src0, src1=
   v_cmpx_lg_i16 \dst, \src0, \src1 
.endm

.macro _v_cmpx_lg_i32 dst, src0, src1=
   v_cmpx_lg_i32 \dst, \src0, \src1 
.endm

.macro _v_cmpx_lg_i64 dst, src0, src1=
   v_cmpx_lg_i64 \dst, \src0, \src1 
.endm

.macro _v_cmpx_lg_u16 dst, src0, src1=
   v_cmpx_lg_u16 \dst, \src0, \src1 
.endm

.macro _v_cmpx_lg_u32 dst, src0, src1=
   v_cmpx_lg_u32 \dst, \src0, \src1 
.endm

.macro _v_cmpx_lg_u64 dst, src0, src1=
   v_cmpx_lg_u64 \dst, \src0, \src1 
.endm

.macro _v_cmpx_ge_i16 dst, src0, src1=
   v_cmpx_ge_i16 \dst, \src0, \src1 
.endm

.macro _v_cmpx_ge_i32 dst, src0, src1=
   v_cmpx_ge_i32 \dst, \src0, \src1 
.endm

.macro _v_cmpx_ge_i64 dst, src0, src1=
   v_cmpx_ge_i64 \dst, \src0, \src1 
.endm

.macro _v_cmpx_ge_u16 dst, src0, src1=
   v_cmpx_ge_u16 \dst, \src0, \src1 
.endm

.macro _v_cmpx_ge_u32 dst, src0, src1=
   v_cmpx_ge_u32 \dst, \src0, \src1 
.endm

.macro _v_cmpx_ge_u64 dst, src0, src1=
   v_cmpx_ge_u64 \dst, \src0, \src1 
.endm

.macro _v_cmpx_o_i16 dst, src0, src1=
   v_cmpx_o_i16 \dst, \src0, \src1 
.endm

.macro _v_cmpx_o_i32 dst, src0, src1=
   v_cmpx_o_i32 \dst, \src0, \src1 
.endm

.macro _v_cmpx_o_i64 dst, src0, src1=
   v_cmpx_o_i64 \dst, \src0, \src1 
.endm

.macro _v_cmpx_o_u16 dst, src0, src1=
   v_cmpx_o_u16 \dst, \src0, \src1 
.endm

.macro _v_cmpx_o_u32 dst, src0, src1=
   v_cmpx_o_u32 \dst, \src0, \src1 
.endm

.macro _v_cmpx_o_u64 dst, src0, src1=
   v_cmpx_o_u64 \dst, \src0, \src1 
.endm

.macro _v_cmpx_u_i16 dst, src0, src1=
   v_cmpx_u_i16 \dst, \src0, \src1 
.endm

.macro _v_cmpx_u_i32 dst, src0, src1=
   v_cmpx_u_i32 \dst, \src0, \src1 
.endm

.macro _v_cmpx_u_i64 dst, src0, src1=
   v_cmpx_u_i64 \dst, \src0, \src1 
.endm

.macro _v_cmpx_u_u16 dst, src0, src1=
   v_cmpx_u_u16 \dst, \src0, \src1 
.endm

.macro _v_cmpx_u_u32 dst, src0, src1=
   v_cmpx_u_u32 \dst, \src0, \src1 
.endm

.macro _v_cmpx_u_u64 dst, src0, src1=
   v_cmpx_u_u64 \dst, \src0, \src1 
.endm
.macro _v_mac_f32 c:req, a:req, b:req
    v_fmac_f32 \c, \a, \b
.endmacro

/* scale global load macros */
.macro _s_load_b32 dst base offset
    s_load_dword \dst \base \offset
.endm

.macro _s_load_b64 dst base offset
    s_load_dwordx2 \dst \base \offset
.endm

.macro _s_load_b128 dst base offset
    s_load_dwordx4 \dst \base \offset
.endm

.macro _s_load_b256 dst base offset
    s_load_dwordx8 \dst \base \offset
.endm

.macro _s_load_b512 dst base offset
    s_load_dwordx16 \dst \base \offset
.endm


/* ds operation macros */
.macro _ds_load_u8 dst src offset
    ds_read_u8 \dst \src \offset
.endm

.macro _ds_load_u8_d16_hi dst src offset
    ds_read_u8_d16_hi \dst \src \offset
.endm

.macro _ds_load_u16 dst src offset
    ds_read_u16 \dst \src \offset
.endm

.macro _ds_load_u16_d16_hi dst src offset
    ds_read_u16_d16_hi \dst \src \offset
.endm

.macro _ds_load_b32 dst src offset
    ds_read_b32 \dst \src \offset
.endm

.macro _ds_load_b64 dst src offset
    ds_read_b64 \dst \src \offset
.endm

.macro _ds_load_b128 dst src offset
    ds_read_b128 \dst \src \offset
.endm

.macro _ds_store_b8 dst src offset
    ds_write_b8 \dst \src \offset
.endm

.macro _ds_store_b8_d16_hi dst src offset
    ds_write_b8_d16_hi \dst \src \offset
.endm

.macro _ds_store_b16 dst src offset
    ds_write_b16 \dst \src \offset
.endm

.macro _ds_store_b16_d16_hi dst src offset
    ds_write_b16_d16_hi \dst \src \offset
.endm

.macro _ds_store_b32 dst src offset
    ds_write_b32 \dst \src \offset
.endm

.macro _ds_store_b64 dst src offset
    ds_write_b64 \dst \src \offset
.endm

.macro _ds_store_b128 dst src offset
    ds_write_b128 \dst \src \offset
.endm

.macro _ds_load2_b32 dst src offset1 offset2
    ds_read2_b32 \dst \src \offset1 \offset2
.endm

.macro _ds_load2_b64 dst src offset1 offset2
    ds_read2_b64 \dst \src \offset1 \offset2
.endm

.macro _ds_store2_b32 dst src offset1 offset2
    ds_write2_b32 \dst \src \offset1 \offset2
.endm

.macro _ds_store2_b64 dst src offset1 offset2
    ds_write2_b64 \dst \src \offset1 \offset2
.endm


/* buffer memory operation macros */
.macro _buffer_load_b32 dst voffset base soffset offen ioffset md0 md1 md2
    buffer_load_dword \dst \voffset \base \soffset \offen \ioffset \md0 \md1 \md2
.endm

.macro _buffer_load_b64 dst voffset base soffset offen ioffset md0 md1 md2
    buffer_load_dwordx2 \dst \voffset \base \soffset \offen \ioffset \md0 \md1 \md2
.endm

.macro _buffer_load_b96 dst voffset base soffset offen ioffset md0 md1 md2
    buffer_load_dwordx3 \dst \voffset \base \soffset \offen \ioffset \md0 \md1 \md2
.endm

.macro _buffer_load_b128 dst voffset base soffset offen ioffset md0 md1 md2
    buffer_load_dwordx4 \dst \voffset \base \soffset \offen \ioffset \md0 \md1 \md2
.endm

.macro _buffer_load_d16_b16 dst voffset base soffset offen ioffset md0 md1 md2
    buffer_load_short_d16 \dst \voffset \base \soffset \offen \ioffset \md0 \md1 \md2
.endm

.macro _buffer_load_d16_hi_b16 dst voffset base soffset offen ioffset md0 md1 md2
    buffer_load_short_d16_hi \dst \voffset \base \soffset \offen \ioffset \md0 \md1 \md2
.endm

.macro _buffer_load_d16_u8 dst voffset base soffset offen ioffset md0 md1 md2
    buffer_load_ubyte_d16 \dst \voffset \base \soffset \offen \ioffset \md0 \md1 \md2
.endm

.macro _buffer_load_d16_hi_u8 dst voffset base soffset offen ioffset md0 md1 md2
    buffer_load_ubyte_d16_hi \dst \voffset \base \soffset \offen \ioffset \md0 \md1 \md2
.endm

.macro _buffer_load_u16 dst voffset base soffset offen ioffset md0 md1 md2
    buffer_load_ushort \dst \voffset \base \soffset \offen \ioffset \md0 \md1 \md2
.endm

.macro _buffer_load_b32_dtl voffset base soffset offen ioffset md0 md1 md2
    buffer_load_dword \voffset \base \soffset \offen \ioffset \md0 \md1 \md2
.endm

.macro _buffer_load_b64_dtl voffset base soffset offen ioffset md0 md1 md2
    buffer_load_dwordx2 \voffset \base \soffset \offen \ioffset \md0 \md1 \md2
.endm

.macro _buffer_load_b128_dtl voffset base soffset offen ioffset md0 md1 md2
    buffer_load_dwordx4 \voffset \base \soffset \offen \ioffset \md0 \md1 \md2
.endm

.macro _buffer_load_u16_dtl voffset base soffset offen ioffset md0 md1 md2
    buffer_load_ushort \voffset \base \soffset \offen \ioffset \md0 \md1 \md2
.endm

.macro _buffer_store_b32 src voffset base soffset offen ioffset md0 md1 md2
    buffer_store_dword \src \voffset \base \soffset \offen \ioffset \md0 \md1 \md2
.endm

.macro _buffer_store_b64 src voffset base soffset offen ioffset md0 md1 md2
    buffer_store_dwordx2 \src \voffset \base \soffset \offen \ioffset \md0 \md1 \md2
.endm

.macro _buffer_store_b96 src voffset base soffset offen ioffset md0 md1 md2
    buffer_store_dwordx3 \src \voffset \base \soffset \offen \ioffset \md0 \md1 \md2
.endm

.macro _buffer_store_b128 src voffset base soffset offen ioffset md0 md1 md2
    buffer_store_dwordx4 \src \voffset \base \soffset \offen \ioffset \md0 \md1 \md2
.endm

.macro _buffer_store_b16 src voffset base soffset offen ioffset md0 md1 md2
    buffer_store_short \src \voffset \base \soffset \offen \ioffset \md0 \md1 \md2
.endm

.macro _buffer_store_d16_hi_b16 src voffset base soffset offen ioffset md0 md1 md2
    buffer_store_short_d16_hi \src \voffset \base \soffset \offen \ioffset \md0 \md1 \md2
.endm

.macro _buffer_store_b8 src voffset base soffset offen ioffset md0 md1 md2
    buffer_store_byte \src \voffset \base \soffset \offen \ioffset \md0 \md1 \md2
.endm

.macro _buffer_store_d16_hi_b8 src voffset base soffset offen ioffset md0 md1 md2
    buffer_store_byte_d16_hi \src \voffset \base \soffset \offen \ioffset \md0 \md1 \md2
.endm

.macro _buffer_atomic_cmpswap_b32 dst voffset base soffset offen ioffset md0 md1 md2
    buffer_atomic_cmpswap \dst \voffset \base \soffset \offen \ioffset \md0 \md1 \md2
.endm

.macro _buffer_atomic_cmpswap_b64 dst voffset base soffset offen ioffset md0 md1 md2
    buffer_atomic_cmpswap_x2 \dst \voffset \base \soffset \offen \ioffset \md0 \md1 \md2
.endm


/* buffer memory operation macros */
.macro _global_load_b32 dst base src ioffset md0 md1 md2
    global_load_dword \dst \base \src \ioffset \md0 \md1 \md2
.endm

.macro _global_load_b64 dst base src ioffset md0 md1 md2
    global_load_dwordx2 \dst \base \src \ioffset \md0 \md1 \md2
.endm

.macro _global_load_b96 dst base src ioffset md0 md1 md2
    global_load_dwordx3 \dst \base \src \ioffset \md0 \md1 \md2
.endm

.macro _global_load_b128 dst base src ioffset md0 md1 md2
    global_load_dwordx4 \dst \base \src \ioffset \md0 \md1 \md2
.endm

.macro _global_load_d16_b16 dst base src ioffset md0 md1 md2
    global_load_short_d16 \dst \base \src \ioffset \md0 \md1 \md2
.endm

.macro _global_load_d16_hi_b16 dst base src ioffset md0 md1 md2
    global_load_short_d16_hi \dst \base \src \ioffset \md0 \md1 \md2
.endm

.macro _global_load_d16_u8 dst base src ioffset md0 md1 md2
    global_load_ubyte_d16 \dst \base \src \ioffset \md0 \md1 \md2
.endm

.macro _global_load_d16_hi_u8 dst base src ioffset md0 md1 md2
    global_load_ubyte_d16_hi \dst \base \src \ioffset \md0 \md1 \md2
.endm

.macro _global_load_u16 dst base src ioffset md0 md1 md2
    global_load_ushort \dst \base \src \ioffset \md0 \md1 \md2
.endm

.macro _global_store_b32 base src src2 md0 md1 md2
    global_store_dword \base \src \src2 \md0 \md1 \md2
.endm

.macro _global_store_b64 base src src2 md0 md1 md2
    global_store_dwordx2 \base \src \src2 \md0 \md1 \md2
.endm

.macro _global_store_b96 base src src2 md0 md1 md2
    global_store_dwordx3 \base \src \src2 \md0 \md1 \md2
.endm

.macro _global_store_b128 base src src2 md0 md1 md2
    global_store_dwordx4 \base \src \src2 \md0 \md1 \md2
.endm

.macro _global_store_d16_b16 base src src2 md0 md1 md2
    global_store_short \base \src \src2 \md0 \md1 \md2
.endm

.macro _global_store_d16_hi_b16 base src src2 md0 md1 md2
    global_store_short_d16_hi \base \src \src2 \md0 \md1 \md2
.endm

.macro _global_store_d16_u8 base src src2 md0 md1 md2
    global_store_ubyte_d16 \base \src \src2 \md0 \md1 \md2
.endm

.macro _global_store_d16_hi_u8 base src src2 md0 md1 md2
    global_store_ubyte_d16_hi \base \src \src2 \md0 \md1 \md2
.endm

.macro _global_store_u16 base src src2 md0 md1 md2
    global_store_ushort \base \src \src2 \md0 \md1 \md2
.endm

.macro _global_atomic_cmpswap_b32 tmp base data src ioffset md
    global_atomic_cmpswap \tmp \base \data \src \ioffset \md
.endm

.macro _global_atomic_cmpswap_b64 tmp base data src ioffset md
    global_atomic_cmpswap_x2 \tmp \base \data \src \ioffset \md
.endm


/******************************************/
/* Magic div and mod functions            */
/******************************************/
.macro V_MAGIC_DIV dstIdx:req, dividend:req, magicNumber:req, magicShift:req, magicA:req
    v_mul_hi_u32 v[\dstIdx+1], \dividend, \magicNumber
    v_mul_lo_u32 v[\dstIdx+0], \dividend, \magicA
    _v_add_u32 v[\dstIdx+0], v[\dstIdx+0], v[\dstIdx+1]
    v_lshrrev_b32 v[\dstIdx+0], \magicShift, v[\dstIdx+0]
.endm

/******************************************/
/* VGPR Assignments                       */
/******************************************/
/* ValuC range: [0-128), serializedStore enabled */
.set vgprValuC, 0
/* ValuA/B   Xn=PLR buffer idx,  In=InnerUnroll idx */
.set vgprValuA_X0_I0, 128
.set vgprValuA_X1_I0, 132
.set vgprValuA_X2_I0, 136
.set vgprValuA_X3_I0, 140
.set vgprG2LA, 184
.set vgprValuB_X0_I0, 144
.set vgprValuB_X1_I0, 152
.set vgprValuB_X2_I0, 160
.set vgprValuB_X3_I0, 168
.set vgprG2LB, 192
.set vgprLocalWriteAddrA, 176
.set vgprLocalWriteAddrB, 177
.set vgprGlobalReadOffsetA, 178
.set vgprGlobalReadOffsetB, 180
.set vgprLocalReadAddrA, 208
.set vgprLocalReadAddrB, 209
.set vgprSerial, 210
/* Num VGPR=256 */
/* Num AccVGPR=0 */

/******************************************/
/* SGPR Assignments                       */
/******************************************/
.set sgprKernArgAddress, 0 // (2)
.set sgprWorkGroup0, 2 // (1)
.set sgprWorkGroup1, 3 // (1)
.set sgprWorkGroup2, 4 // (1)
.set sgprLoopCounterL, 5 // (1)
.set sgprOrigLoopCounter, 6 // (1)
.set sgprSrdA, 8 // (4)
.set sgprSrdB, 12 // (4)
.set sgprSrdD, 16 // (4)
.set sgprSrdC, 20 // (4)
.set sgprTensor2dSizeA, 24 // (2)
.set sgprTensor2dSizeB, 26 // (2)
.set sgprAddressD, 28 // (2)
.set sgprAddressC, 30 // (2)
.set sgprAddressA, 32 // (2)
.set sgprAddressB, 34 // (2)
.set sgprAlpha, 36 // (1)
.set sgprBeta, 37 // (1)
.set sgprStridesD, 38 // (2)
.set sgprStridesC, 40 // (2)
.set sgprStridesA, 42 // (2)
.set sgprStridesB, 44 // (2)
.set sgprSizesFree, 46 // (3)
.set sgprSizesSum, 49 // (1)
.set sgprNumWorkGroups0, 50 // (1)
.set sgprNumWorkGroups1, 51 // (1)
.set sgprNumFullBlocks, 52 // (1)
.set sgprWgmRemainder1, 53 // (1)
.set sgprMagicNumberWgmRemainder1, 54 // (1)
.set sgprShadowLimitA, 0 // (2)
.set sgprShadowLimitB, 28 // (2)
.set sgprGlobalReadIncsA, 7 // (1)
.set sgprGlobalReadIncsB, 30 // (1)
/* max SGPR=58 */

/* Size Assignments */
.set sgprSizeI, sgprSizesFree+0
.set sgprSizeJ, sgprSizesFree+1
.set sgprSizeK, sgprSizesFree+2
.set sgprSizeL, sgprSizesSum+0

/* Stride Assignments */
.set constStrideD0I, 1
.set sgprStrideD1J, sgprStridesD+0
.set sgprStrideDK, sgprStridesD+1
.set constStrideC0I, 1
.set sgprStrideC1J, sgprStridesC+0
.set sgprStrideCK, sgprStridesC+1
.set constStrideA0I, 1
.set sgprStrideAL, sgprStridesA+0
.set sgprStrideAK, sgprStridesA+1
.set constStrideB1J, 1
.set sgprStrideBL, sgprStridesB+0
.set sgprStrideBK, sgprStridesB+1

.set MT0, 128
.set MT1, 256
.set DepthU, 32
.set GSU, 1
.set BpeA, 2
.set BpeALog2, 1
.set BpeB, 2
.set BpeBLog2, 1
/* Number of elements to shift-left SRD */
.set SrdShiftLeftA, 8
.set SrdShiftLeftB, 8
/* 2GB limit - set offsets to -1 to exceed this and clamp */
.set BufferLimitA, 0xffffffff
.set BufferLimitB, 0xffffffff
.set BufferOOB, 0xfffff000

/******************************************/
/* Bits 127:96 of SRD.                    */
/* hex: 0x00020000                        */
/* dst_sel_x (3b): 0                      */
/* dst_sel_y (3b): 0                      */
/* dst_sel_z (3b): 0                      */
/* dst_sel_w (3b): 0                      */
/* num_format (3b): 0                     */
/* data_format (4b): 4                    */
/* user_vm_enable (1b): 0                 */
/* user_vm_mode (1b): 0                   */
/* index_stride (2b): 0                   */
/* add_tid_enable (1b): 0                 */
/* _unusedA (3b): 0                       */
/* nv (1b): 0                             */
/* _unusedB (2b): 0                       */
/* type (2b): 0                           */
/******************************************/
.set Srd127_96, 0x00020000

/* Global Offset A */
.macro GLOBAL_OFFSET_A vgprAddr:req vgprOffset0I:req vgprOffsetL:req vgprTmp:req
v_mul_lo_u32 v[\vgprTmp+0], s[sgprStrideAL], v[\vgprOffsetL] // mul d1 lower
_v_add_co_u32 v[\vgprAddr+0], vcc, v[\vgprOffset0I], v[\vgprTmp+0] // accumulate K lower
_v_add_u32 v[\vgprAddr+0], 0x8, v[\vgprAddr+0]     // add prepad for pointer shift
v_lshlrev_b32 v[\vgprAddr+0], 0x1, v[\vgprAddr+0]  // offset *= bytes/element
.endm

/* Global Offset B */
.macro GLOBAL_OFFSET_B vgprAddr:req vgprOffset1J:req vgprOffsetL:req vgprTmp:req
v_mul_lo_u32 v[\vgprTmp+0], s[sgprStrideBL], v[\vgprOffsetL] // mul d1 lower
_v_add_co_u32 v[\vgprAddr+0], vcc, v[\vgprOffset1J], v[\vgprTmp+0] // accumulate K lower
_v_add_u32 v[\vgprAddr+0], 0x8, v[\vgprAddr+0]     // add prepad for pointer shift
v_lshlrev_b32 v[\vgprAddr+0], 0x1, v[\vgprAddr+0]  // offset *= bytes/element
.endm

/******************************************/
/* Dynamic Scalar Divide: vQuotient=vDividend/vDivisor; vRemainder=vDividend%vDivisor; */
/******************************************/
.macro DYNAMIC_VECTOR_DIVIDE vQuotient vRemainder vDividend vDivisor vTmp0 vTmp1 sTmp
v_cvt_f32_u32 v[\vQuotient], v[\vDivisor]          // 
v_rcp_f32 v[\vQuotient], v[\vQuotient]             // 
v_mul_f32 v[\vQuotient], 0x4f800000, v[\vQuotient] // 
v_cvt_u32_f32 v[\vQuotient], v[\vQuotient]         // 
v_mul_lo_u32 v[\vRemainder], v[\vDivisor], v[\vQuotient] // 
v_mul_hi_u32 v[\vTmp0], v[\vDivisor], v[\vQuotient] // 
_v_sub_co_u32 v[\vTmp1], vcc, 0x0, v[\vRemainder]  // 
v_cmp_ne_i32 s[\sTmp:\sTmp+1], 0x0, v[\vTmp0]      // 
v_cndmask_b32 v[\vRemainder], v[\vTmp1], v[\vRemainder], s[\sTmp:\sTmp+1] // 
v_mul_hi_u32 v[\vRemainder], v[\vRemainder], v[\vQuotient] // 
_v_sub_co_u32 v[\vTmp0], vcc, v[\vQuotient], v[\vRemainder] // 
_v_add_co_u32 v[\vQuotient], vcc, v[\vQuotient], v[\vRemainder] // 
v_cndmask_b32 v[\vQuotient], v[\vQuotient], v[\vTmp0], s[\sTmp:\sTmp+1] // 
v_mul_hi_u32 v[\vQuotient], v[\vQuotient], v[\vDividend] // 
v_mul_lo_u32 v[\vRemainder], v[\vQuotient], v[\vDivisor] // 
_v_sub_co_u32 v[\vTmp0], vcc, v[\vDividend], v[\vRemainder] // 
v_cmp_ge_u32 s[\sTmp:\sTmp+1], v[\vDividend], v[\vRemainder] // 
_v_add_co_u32 v[\vRemainder], vcc, 0x1, v[\vQuotient] // 
_v_add_co_u32 v[\vTmp1], vcc, -1, v[\vQuotient]    // 
v_cmp_le_u32 vcc, v[\vDivisor], v[\vTmp0]          // 
s_and_b64 vcc, s[\sTmp:\sTmp+1], vcc               // 
v_cndmask_b32 v[\vQuotient], v[\vQuotient], v[\vRemainder], vcc // 
v_cndmask_b32 v[\vQuotient], v[\vTmp1], v[\vQuotient], s[\sTmp:\sTmp+1] // 
v_cmp_ne_i32 vcc, 0x0, v[\vDivisor]                // 
v_cndmask_b32 v[\vQuotient], -1, v[\vQuotient], vcc // final result
v_mul_lo_u32 v[\vRemainder], v[\vQuotient], v[\vDivisor] // 
_v_sub_co_u32 v[\vRemainder], vcc, v[\vDividend], v[\vRemainder] // final result
.endm


	;; [unrolled: 1-line block ×3, first 2 shown]
/******************************************/
/* Allocate Resources                     */
/******************************************/

Cijk_Ailk_Bjlk_BBS_BH_MT128x256x32_MI32x32x8x1_SN_1LDSB1_APM1_AF0EM1_AF1EM1_AMAS3_ASGT_ASLT_ASAE01_ASCE01_ASEM1_BL1_BS1_CLR0_DTLA0_DTLB0_DTVA0_DVO0_EPS1_FL0_GLVWA8_GLVWB8_GRVW8_GSU1_GSUASB_GLS0_ISA90a_IU1_K1_KLA_LBSPPA0_LBSPPB0_LPA0_LPB0_LDL1_LRVW4_LDW0_FMA_MIAV1_MMFGLC_NTA0_NTB0_NTC3_NTD3_NEPBS0_NLCA1_NLCB1_ONLL1_OPLV0_PK0_PAP0_PGR1_PLR5_SIA3_SS1_SU0_SUM0_SUS0_SCIUI1_SPO0_SRVW0_SSO0_SVW2_SNLL0_TT2_128_TLDS0_UMLDSA0_UMLDSB0_USFGROn1_VAW1_VSn1_VW2_VWB2_VFLRP0_WSGRA0_WSGRB0_WG64_4_1_WGM2_preloaded: // Kernel start when preloading

/* Load Kernel Args */
_s_load_b512 s[24:39], s[sgprKernArgAddress:sgprKernArgAddress+1], 0x0 // 
_s_load_b256 s[40:47], s[sgprKernArgAddress:sgprKernArgAddress+1], 0x40 // 
_s_load_b128 s[48:51], s[sgprKernArgAddress:sgprKernArgAddress+1], 0x60 // 
_s_load_b64 s[52:53], s[sgprKernArgAddress:sgprKernArgAddress+1], 0x70 // 
_s_load_b32 s54, s[sgprKernArgAddress:sgprKernArgAddress+1], 0x78 // 
s_mov_b32 m0, 0x6000                               // LDS clamp at 24576 bytes
v_mov_b32 v[vgprSerial], v0                        // thread serial id

/******************************************/
/* Local Read Addresses                   */
/******************************************/


/* local read addresses: tile assignments a/b */

/*lr0I*/
v_and_b32 v1, 63, v[vgprSerial]                    // 0. thread id in wave: wtid = tid % wavelength(64)
v_and_b32 v0, 31, v1                               // 1. N offset: nIdx = wtid % MI_N(32)
                                                   // 1. N offset: nOffset = nIdx * nStride(1) (multiplier is 1, do nothing)
                                                   // 2. block offset: bnIdx = bnIdx % num1DBlocks(1) is 0. do nothing
v_lshlrev_b32 v0, 0x1, v0                          // 4. apply VectorWidth: bnOffset = bnOffset * vw(2)
v_lshrrev_b32 v1, 5, v1                            // 5. K offset: kIdx = wtid / (MIN(32) * MIBB(1))
v_lshlrev_b32 v1, 0x9, v1                          // 5. K offset: lrKOffset = kIdx * mStride(512)
_v_add_u32 v0, v1, v0                              // 6. offset in wave: lrOffset = bnOffset + lrKOffset
v_lshrrev_b32 v2, 6, v[vgprSerial]                 // 7. wave offset in N dimen: wtid = tid / dividedForWaveId(64)
v_and_b32 v1, 1, v2                                // 7. wave offset in M dimen: wtid0 = wtid / num1DWaves(2)
v_lshlrev_b32 v1, 0x6, v1                          // 7. wave offset in M dimen: wOffset = wtid0 * W0Stride(64)
_v_add_u32 v0, v1, v0                              // 8. final local read offset: flrOffset = lrOffset + WOffset
/*lr1J*/
v_and_b32 v2, 63, v[vgprSerial]                    // 0. thread id in wave: wtid = tid % wavelength(64)
v_and_b32 v1, 31, v2                               // 1. N offset: nIdx = wtid % MI_N(32)
                                                   // 1. N offset: nOffset = nIdx * nStride(1) (multiplier is 1, do nothing)
                                                   // 2. block offset: bnIdx = bnIdx % num1DBlocks(1) is 0. do nothing
v_lshlrev_b32 v1, 0x1, v1                          // 4. apply VectorWidth: bnOffset = bnOffset * vw(2)
v_lshrrev_b32 v2, 5, v2                            // 5. K offset: kIdx = wtid / (MIN(32) * MIBB(1))
v_lshlrev_b32 v2, 0xa, v2                          // 5. K offset: lrKOffset = kIdx * mStride(1024)
_v_add_u32 v1, v2, v1                              // 6. offset in wave: lrOffset = bnOffset + lrKOffset
v_lshrrev_b32 v3, 7, v[vgprSerial]                 // 7. wave offset in N dimen: wtid = tid / dividedForWaveId(128)
v_and_b32 v2, 1, v3                                // 7. wave offset in M dimen: wtid0 = wtid / num1DWaves(2)
v_lshlrev_b32 v2, 0x6, v2                          // 7. wave offset in M dimen: wOffset = wtid0 * W0Stride(64)
_v_add_u32 v1, v2, v1                              // 8. final local read offset: flrOffset = lrOffset + WOffset


/* local read addresses: final offsets a */

v_lshlrev_b32 v[vgprLocalReadAddrA], 0x1, v0       // Final Offset: offset = (lro0)*bpe


/* local read addresses: final offsets b */

v_lshlrev_b32 v[vgprLocalReadAddrB], 0x1, v1       // Final Offset: offset = (lro1)*bpe


/* local read addresses: declare addresses a */

/* N/A */


/* local read addresses: declare addresses b */

_v_add_co_u32 v[vgprLocalReadAddrB+0], vcc, 0x2000, v[vgprLocalReadAddrB+0] //  += LdsOffsetB (lower)


/* global read addresses: tile offset assignment a */

/* LVCA = 16 */
/* v0 = (local)groA-tile = serial%LVCA (note (wgA*MTA) will be added to SRD) */
/* v1 = groA-unroll = serial/LVCA */
v_lshrrev_b32 v1, 4, v[vgprSerial]                 // v1 = v[vgprSerial] / 16
v_and_b32 v0, 15, v[vgprSerial]                    // v0 = v[vgprSerial] % 16
/* gro-tile *= glvw */
v_lshlrev_b32 v0, 0x3, v0                          // v0 = v0 * 8


/* global read addresses: tile offset assignment b */

/* LVCB = 32 */
/* v2 = (local)groB-tile = serial%LVCB (note (wgB*MTB) will be added to SRD) */
/* v3 = groB-unroll = serial/LVCB */
v_lshrrev_b32 v3, 5, v[vgprSerial]                 // v3 = v[vgprSerial] / 32
v_and_b32 v2, 31, v[vgprSerial]                    // v2 = v[vgprSerial] % 32
/* gro-tile *= glvw */
v_lshlrev_b32 v2, 0x3, v2                          // v2 = v2 * 8


/******************************************/
/* Local Write Addresses                  */
/******************************************/

/* lwaTileAssignmentA = v0 */

/* lwaTileAssignmentB = v2 */

/* lwaUnrollAssignmentA = v1 */

/* lwaUnrollAssignmentB = v3 */


/* local write addresses: first offset a */

v_mul_u32_u24 v[vgprLocalWriteAddrA], 0x80, v1     // lwAL**(MTA + PAD)
_v_add_lshl_u32 v[vgprLocalWriteAddrA], v0, v[vgprLocalWriteAddrA], 0x1 // lwFOA = (lwAA + lwAL*(MT0I+PAD))*bpe


/* local write addresses: first offset b */

v_mul_u32_u24 v[vgprLocalWriteAddrB], 0x100, v3    // lwBL**(MTB + PAD)
_v_add_lshl_u32 v[vgprLocalWriteAddrB], v2, v[vgprLocalWriteAddrB], 0x1 // lwFOB = (lwBB + lwBL*(MT1J+PAD))*bpe
_v_add_co_u32 v[vgprLocalWriteAddrB], vcc, 0x2000, v[vgprLocalWriteAddrB] // lwFOB = lwB1J + lwBL*MT1J + LDS_OFFSET_B=4096*2


	;; [unrolled: 1-line block ×7, first 2 shown]
s_waitcnt lgkmcnt(0)                               // wait for 124 bytes of kern args
s_mov_b64 s[sgprSrdC+0:sgprSrdC+0+1], s[sgprAddressC+0:sgprAddressC+0+1] // copy addressC
s_mov_b64 s[sgprSrdD+0:sgprSrdD+0+1], s[sgprAddressD+0:sgprAddressD+0+1] // copy addressD
s_sub_u32 s[sgprSrdA+0], s[sgprAddressA+0], 16     // pre-pad to make room for possible pointer shift
s_subb_u32 s[sgprSrdA+1], s[sgprAddressA+1], 0     // pre-pad to make room for possible pointer shift
s_sub_u32 s[sgprSrdB+0], s[sgprAddressB+0], 16     // pre-pad to make room for possible pointer shift
s_subb_u32 s[sgprSrdB+1], s[sgprAddressB+1], 0     // pre-pad to make room for possible pointer shift

.set AddressD, UNDEF
.set AddressC, UNDEF
.set AddressA, UNDEF
.set AddressB, UNDEF

/* Short circuit condition if Alpha == 0, then sumDims=0 */
v_cmp_eq_f32 vcc, s[sgprAlpha], 0.0                // Alpha == 0.0f ?
s_cbranch_vccz label_AlphaNonZero                  // branch if alpha != 0
s_mov_b32 s[sgprSizesSum+0], 0x0                   // Set summation dim=0 if Alpha == 0
label_AlphaNonZero:



/******************************************/
/* Begin setupNewTile, isPap=False           */
/******************************************/


/* global read addresses: work-group */

/* graWorkGroup mapping */
s_mov_b32 s35, 0x40000001L                         // magic number for WGM==2
s_mul_hi_u32 s33, s[sgprWorkGroup1], s35           // s_magic mul
s_mul_i32 s32, s[sgprWorkGroup1], s35              // s_magic mul
s_lshr_b64 s[32:33], s[32:33], 31                  // sMagicDiv
s_mul_i32 s33, s32, 2                              // quotient * non-magic divisor
s_sub_u32 s33, s[sgprWorkGroup1], s33              // WorkGroup1=remainder
s_mul_i32 s33, s33, s[sgprNumWorkGroups0]          // (wg1 % WGM)*nwg0
s_add_u32 s33, s33, s[sgprWorkGroup0]              // wgSerial = wg0 + (wg1 % WGM)*nwg1
s_cmp_ge_u32 s32, s[sgprNumFullBlocks]             // blockId >= numFullBlocks ?
s_cmov_b32 s35, s[sgprMagicNumberWgmRemainder1]    // 
s_cselect_b32 s34, s[sgprWgmRemainder1], 2         // 
s_mul_hi_u32 s3, s33, s35                          // s_magic mul
s_mul_i32 s2, s33, s35                             // s_magic mul
s_lshr_b64 s[2:3], s[2:3], 31                      // sMagicDiv
s_mul_i32 s[sgprWorkGroup1], s[sgprWorkGroup0], s34 // quotient * non-magic divisor
s_sub_u32 s[sgprWorkGroup1], s33, s[sgprWorkGroup1] // WorkGroup1=remainder
s_mul_i32 s32, s32, 2                              // blockId * WGM
s_add_u32 s[sgprWorkGroup1], s[sgprWorkGroup1], s32 // wg1 += blockId * WGM


/* global read addresses: unroll assignment a */

/* v1 */


/* global read addresses: unroll assignment b */

/* v3 */


/* global read addresses: other free assignments */

/* s[sgprWorkGroup2] */


/* global read addresses: tile offsets a */

v_mov_b32 v4, v0                                   // groA0I_0


/* global read addresses: tile offsets b */

v_mov_b32 v5, v2                                   // groB1J_0


/* global read addresses: unroll offsets a */

v_mov_b32 v6, v1                                   // groAL_0
_v_add_co_u32 v7, vcc, 16, v6                      // groAL_1 + LSPA


/* global read addresses: unroll offsets b */

v_mov_b32 v8, v3                                   // groBL_0
_v_add_co_u32 v9, vcc, 8, v8                       // groBL_1 + LSPB
_v_add_co_u32 v10, vcc, 8, v9                      // groBL_2 + LSPB
_v_add_co_u32 v11, vcc, 8, v10                     // groBL_3 + LSPB


/* global read addresses: shift a */

s_mul_i32 s31, s[sgprWorkGroup0], 128              // WorkGroup[01] * MT
s_sub_u32 s31, s[sgprSizeI], s31                   // edge = Size0I - WG*MT
s_sub_u32 s31, s31, 8                              // edge -= margin(8)
v_mov_b32 v12, s31                                 // edge vgpr = Size0I- WG*MT - margin(8)
v_min_i32 v4, v12, v4                              // offset = (offset < edge) ? offset(v4) : edge(v12)


/* global read addresses: shift b */

s_mul_i32 s31, s[sgprWorkGroup1], 256              // WorkGroup[01] * MT
s_sub_u32 s31, s[sgprSizeJ], s31                   // edge = Size1J - WG*MT
s_sub_u32 s31, s31, 8                              // edge -= margin(8)
v_mov_b32 v12, s31                                 // edge vgpr = Size1J- WG*MT - margin(8)
v_min_i32 v5, v12, v5                              // offset = (offset < edge) ? offset(v5) : edge(v12)


/* global read addresses: final offsets a */

GLOBAL_OFFSET_A vgprGlobalReadOffsetA+0,  4,  6, 12 // gROA_0_0_0_0
GLOBAL_OFFSET_A vgprGlobalReadOffsetA+1,  4,  7, 12 // gROA_0_0_1_0


/* global read addresses: final offsets b */

GLOBAL_OFFSET_B vgprGlobalReadOffsetB+0,  5,  8, 12 // gROB_0_0_0_0
GLOBAL_OFFSET_B vgprGlobalReadOffsetB+1,  5,  9, 12 // gROB_0_0_1_0
GLOBAL_OFFSET_B vgprGlobalReadOffsetB+2,  5, 10, 12 // gROB_0_0_2_0
GLOBAL_OFFSET_B vgprGlobalReadOffsetB+3,  5, 11, 12 // gROB_0_0_3_0


/* global read addresses: addresses a */

/* max read offset = size[n] * stride[n-1] */
s_mul_hi_u32 s35, s[sgprWorkGroup0], 128           // WorkGroup[01] * MT
s_mul_i32 s34, s[sgprWorkGroup0], 128              // WorkGroup[01] * MT
s_sub_u32 s[sgprShadowLimitA+0], s[sgprTensor2dSizeA], s34 // sub tileStart
s_subb_u32 s[sgprShadowLimitA+1], s[sgprTensor2dSizeA+1], s35 // sub tileStart
s_lshl_b64 s[sgprShadowLimitA:sgprShadowLimitA+1], s[sgprShadowLimitA:sgprShadowLimitA+1], 0x1 // Set limit to use bytes
s_add_u32 s[sgprShadowLimitA+0], s[sgprShadowLimitA+0], 16 // extend limit for pre-pad
s_addc_u32 s[sgprShadowLimitA+1], s[sgprShadowLimitA+1], 0 // extend limit for pre-pad
s_cmp_eq_u32 s[sgprShadowLimitA+1], 0              // are we within 2^32?
s_cselect_b32 s[sgprSrdA+2], s[sgprShadowLimitA+0], BufferLimitA // Move shadow to real if we are within 2^32
s_mul_hi_u32 s33, s[sgprStrideAK], s[sgprWorkGroup2] // Stride*WG
s_mul_i32 s32, s[sgprStrideAK], s[sgprWorkGroup2]  // Stride*WG
s_add_u32 s34, s34, s32                            // accum wg term to tilestart
s_addc_u32 s35, s35, s33                           // accum wg term to tilestart
s_lshl_b64 s[34:35], s[34:35], 0x1                 // tileStart *= BPE
s_add_u32 s[sgprSrdA+0], s[sgprSrdA+0], s34        // SRD base = Address+ tileStart0
s_addc_u32 s[sgprSrdA+1], s[sgprSrdA+1], s35       // SRD base = Address+ tileStart1
s_mov_b32 s[sgprSrdA+3], Srd127_96                 // Set bits 127_96 in SRD


/* global read addresses: addresses b */

/* max read offset = size[n] * stride[n-1] */
s_mul_hi_u32 s35, s[sgprWorkGroup1], 256           // WorkGroup[01] * MT
s_mul_i32 s34, s[sgprWorkGroup1], 256              // WorkGroup[01] * MT
s_sub_u32 s[sgprShadowLimitB+0], s[sgprTensor2dSizeB], s34 // sub tileStart
s_subb_u32 s[sgprShadowLimitB+1], s[sgprTensor2dSizeB+1], s35 // sub tileStart
s_lshl_b64 s[sgprShadowLimitB:sgprShadowLimitB+1], s[sgprShadowLimitB:sgprShadowLimitB+1], 0x1 // Set limit to use bytes
s_add_u32 s[sgprShadowLimitB+0], s[sgprShadowLimitB+0], 16 // extend limit for pre-pad
s_addc_u32 s[sgprShadowLimitB+1], s[sgprShadowLimitB+1], 0 // extend limit for pre-pad
s_cmp_eq_u32 s[sgprShadowLimitB+1], 0              // are we within 2^32?
s_cselect_b32 s[sgprSrdB+2], s[sgprShadowLimitB+0], BufferLimitB // Move shadow to real if we are within 2^32
s_mul_hi_u32 s33, s[sgprStrideBK], s[sgprWorkGroup2] // Stride*WG
s_mul_i32 s32, s[sgprStrideBK], s[sgprWorkGroup2]  // Stride*WG
s_add_u32 s34, s34, s32                            // accum wg term to tilestart
s_addc_u32 s35, s35, s33                           // accum wg term to tilestart
s_lshl_b64 s[34:35], s[34:35], 0x1                 // tileStart *= BPE
s_add_u32 s[sgprSrdB+0], s[sgprSrdB+0], s34        // SRD base = Address+ tileStart0
s_addc_u32 s[sgprSrdB+1], s[sgprSrdB+1], s35       // SRD base = Address+ tileStart1
s_mov_b32 s[sgprSrdB+3], Srd127_96                 // Set bits 127_96 in SRD


/* global read addresses: increments a */

s_mul_i32 s[sgprGlobalReadIncsA+0], DepthU*BpeA, s[sgprStrideAL] // incrA unrollIdx)


/* global read addresses: increments b */

s_mul_i32 s[sgprGlobalReadIncsB+0], DepthU*BpeB, s[sgprStrideBL] // incrB unrollIdx)

/* declare loop num iterations */


s_lshr_b32 s[sgprLoopCounterL], s[sgprSizesSum+0], 5 // s[sgprLoopCounterL] = s[sgprSizesSum+0] / 32
s_mov_b32 s[sgprOrigLoopCounter], s[sgprLoopCounterL] // copy loop counter

/* local read addresses: init pointers a */


/* localReadInitPointers */

/* local read addresses: init pointers b */


/* localReadInitPointers */


/* prefetch: global -> local */

s_cmp_eq_u32 s[sgprLoopCounterL], 0                // at last iteration?
s_cbranch_scc1 ShadowInitStart_10                  // skip to ShadowInitStart iter b/c numIter==0


_buffer_load_b128 v[vgprG2LA+0:vgprG2LA+0+3], v[vgprGlobalReadOffsetA+0], s[sgprSrdA:sgprSrdA+3], 0, offen offset:0 // G -> Reg 0_0_0_0
_buffer_load_b128 v[vgprG2LA+4:vgprG2LA+4+3], v[vgprGlobalReadOffsetA+1], s[sgprSrdA:sgprSrdA+3], 0, offen offset:0 // G -> Reg 0_0_1_0


_buffer_load_b128 v[vgprG2LB+0:vgprG2LB+0+3], v[vgprGlobalReadOffsetB+0], s[sgprSrdB:sgprSrdB+3], 0, offen offset:0 // G -> Reg 0_0_0_0
_buffer_load_b128 v[vgprG2LB+4:vgprG2LB+4+3], v[vgprGlobalReadOffsetB+1], s[sgprSrdB:sgprSrdB+3], 0, offen offset:0 // G -> Reg 0_0_1_0
_buffer_load_b128 v[vgprG2LB+8:vgprG2LB+8+3], v[vgprGlobalReadOffsetB+2], s[sgprSrdB:sgprSrdB+3], 0, offen offset:0 // G -> Reg 0_0_2_0
_buffer_load_b128 v[vgprG2LB+12:vgprG2LB+12+3], v[vgprGlobalReadOffsetB+3], s[sgprSrdB:sgprSrdB+3], 0, offen offset:0 // G -> Reg 0_0_3_0


/* global read inc A loopL */
s_add_u32 s[sgprSrdA+0], s[sgprSrdA+0], s[sgprGlobalReadIncsA+0] // gra SRD += inc(lower)
s_addc_u32  s[sgprSrdA+1], s[sgprSrdA+1], 0        // gra SRD += inc(upper)
s_sub_u32 s[sgprShadowLimitA+0], s[sgprShadowLimitA+0], s[sgprGlobalReadIncsA+0] // limit -= inc)
s_subb_u32 s[sgprShadowLimitA+1], s[sgprShadowLimitA+1], 0 // limit -= inc)
s_cmp_eq_u32 s[sgprShadowLimitA+1], 0              // are we within 2^32?
s_cmov_b32 s[sgprSrdA+2], s[sgprShadowLimitA+0]    // Move shadow to real if we are within 2^32

/* global read inc B loopL */
s_add_u32 s[sgprSrdB+0], s[sgprSrdB+0], s[sgprGlobalReadIncsB+0] // gra SRD += inc(lower)
s_addc_u32  s[sgprSrdB+1], s[sgprSrdB+1], 0        // gra SRD += inc(upper)
s_sub_u32 s[sgprShadowLimitB+0], s[sgprShadowLimitB+0], s[sgprGlobalReadIncsB+0] // limit -= inc)
s_subb_u32 s[sgprShadowLimitB+1], s[sgprShadowLimitB+1], 0 // limit -= inc)
s_cmp_eq_u32 s[sgprShadowLimitB+1], 0              // are we within 2^32?
s_cmov_b32 s[sgprSrdB+2], s[sgprShadowLimitB+0]    // Move shadow to real if we are within 2^32


/******************************************/
/* End setupNewTile, isPap=False             */
/******************************************/

ShadowInitStart_10: // 

s_mov_b32 s[sgprSrdD+2], BufferOOB                 // 
s_mov_b32 s[sgprSrdD+3], Srd127_96                 // Set bits 127_96 in post-loop SRD

s_mov_b32 s[sgprSrdC+2], BufferOOB                 // 
s_mov_b32 s[sgprSrdC+3], Srd127_96                 // Set bits 127_96 in post-loop SRD


s_mul_i32 s34, MT1, s[sgprWorkGroup1]              // <- wg1*MT1
s_mul_hi_u32 s33, s34, s[sgprStrideC1J]            // CScale s34 by Stride
s_mul_i32 s32, s34, s[sgprStrideC1J]               // CScale s34 by Stride
s_lshl_b64 s[32:33], s[32:33], 1                   // scale by bpe
s_add_u32 s[sgprSrdC+0], s[sgprSrdC+0], s32        // add lo to SRD
s_addc_u32 s[sgprSrdC+1], s[sgprSrdC+1], s33       // add hi to SRD
s_mul_hi_u32 s33, s34, s[sgprStrideD1J]            // Scale s34 by Stride
s_mul_i32 s32, s34, s[sgprStrideD1J]               // Scale s34 by Stride
s_lshl_b64 s[32:33], s[32:33], 1                   // scale by bpe
s_add_u32 s[sgprSrdD+0], s[sgprSrdD+0], s32        // add lo to SRD
s_addc_u32 s[sgprSrdD+1], s[sgprSrdD+1], s33       // add hi to SRD

s_mul_hi_u32 s33, s[sgprWorkGroup2], s[sgprStrideCK] // CScale s[sgprWorkGroup2] by Stride
s_mul_i32 s32, s[sgprWorkGroup2], s[sgprStrideCK]  // CScale s[sgprWorkGroup2] by Stride
s_lshl_b64 s[32:33], s[32:33], 1                   // scale by bpe
s_add_u32 s[sgprSrdC+0], s[sgprSrdC+0], s32        // add lo to SRD
s_addc_u32 s[sgprSrdC+1], s[sgprSrdC+1], s33       // add hi to SRD
s_mul_hi_u32 s33, s[sgprWorkGroup2], s[sgprStrideDK] // Scale s[sgprWorkGroup2] by Stride
s_mul_i32 s32, s[sgprWorkGroup2], s[sgprStrideDK]  // Scale s[sgprWorkGroup2] by Stride
s_lshl_b64 s[32:33], s[32:33], 1                   // scale by bpe
s_add_u32 s[sgprSrdD+0], s[sgprSrdD+0], s32        // add lo to SRD
s_addc_u32 s[sgprSrdD+1], s[sgprSrdD+1], s33       // add hi to SRD


	;; [unrolled: 1-line block ×3, first 2 shown]
/* initC: remove C-tile 0-128 from pool */

/* initC: remove AB-tile 128-176 from pool */
v_mov_b32 v[vgprValuC+0], 0x0                      // initC
v_mov_b32 v[vgprValuC+1], 0x0                      // initC
	;; [unrolled: 1-line block ×10, first 2 shown]
v_mov_b32 v[vgprValuC+10], 0x0                     // initC
v_mov_b32 v[vgprValuC+11], 0x0                     // initC
	;; [unrolled: 1-line block ×90, first 2 shown]
v_mov_b32 v[vgprValuC+100], 0x0                    // initC
v_mov_b32 v[vgprValuC+101], 0x0                    // initC
	;; [unrolled: 1-line block ×28, first 2 shown]

s_cmp_eq_u32 s[sgprLoopCounterL], 0                // at last iteration?

/* after InitC, skip to end of prefetch last iter if numIter==0 */
s_cbranch_scc0 label_NoBranch_11                   // Only branch on scc1
s_getpc_B64 s[32:33]                               // addr of next instr
s_add_i32 s34, PrefetchGlobalLastIterEnd_5, 0x4    // target branch offset
s_add_u32 s32, s32, s34                            // add target branch offset
s_addc_u32 s33, s33, 0                             // add high and carry
s_setpc_b64 s[32:33]                               // branch to PrefetchGlobalLastIterEnd_5
label_NoBranch_11:

s_waitcnt vmcnt(0)                                 // lgkmcnt=-1 vmcnt=0 8wait for global read


/* local write a */
_ds_store_b128 v[vgprLocalWriteAddrA], v[vgprG2LA+0:vgprG2LA+0+3] offset:0 // lwoA_0_0_0_0 = (0*LSCA) + (0*LSPA)(*MT0I+PAD) = 0
_ds_store_b128 v[vgprLocalWriteAddrA], v[vgprG2LA+4:vgprG2LA+4+3] offset:4096 // lwoA_0_0_1_0 = (0*LSCA) + (1*LSPA)(*MT0I+PAD) = 4096

/* local write b */
_ds_store_b128 v[vgprLocalWriteAddrB], v[vgprG2LB+0:vgprG2LB+0+3] offset:0 // lwoB_0_0_0_0 = (0*LSCB) + (0*LSPB)(*MT1J+PAD) = 0
_ds_store_b128 v[vgprLocalWriteAddrB], v[vgprG2LB+4:vgprG2LB+4+3] offset:4096 // lwoB_0_0_1_0 = (0*LSCB) + (1*LSPB)(*MT1J+PAD) = 4096
_ds_store_b128 v[vgprLocalWriteAddrB], v[vgprG2LB+8:vgprG2LB+8+3] offset:8192 // lwoB_0_0_2_0 = (0*LSCB) + (2*LSPB)(*MT1J+PAD) = 8192
_ds_store_b128 v[vgprLocalWriteAddrB], v[vgprG2LB+12:vgprG2LB+12+3] offset:12288 // lwoB_0_0_3_0 = (0*LSCB) + (3*LSPB)(*MT1J+PAD) = 12288


/* local write swap a */


	;; [unrolled: 1-line block ×3, first 2 shown]
/* local write swap b */


	;; [unrolled: 1-line block ×4, first 2 shown]
s_waitcnt lgkmcnt(0)                               // lgkmcnt=0 vmcnt=-10prefetch wait for local write

s_waitcnt lgkmcnt(0) & vmcnt(0)                    // force waitcnt0
s_barrier //


/* local read prefetch a */

_ds_load_u16 v[vgprValuA_X0_I0+0], v[vgprLocalReadAddrA] offset:0 // L -> Reg lro=0 swapByteOffset=0 ti=128 vIdx=0 rIdx=0 oIdx=0 buffer=0 iui=0
_ds_load_u16_d16_hi v211, v[vgprLocalReadAddrA] offset:256 // L -> Reg lro=0 swapByteOffset=0 ti=128 vIdx=0 rIdx=1 oIdx=0 buffer=0 iui=0
_ds_load_u16 v[vgprValuA_X0_I0+1], v[vgprLocalReadAddrA] offset:512 // L -> Reg lro=0 swapByteOffset=0 ti=128 vIdx=0 rIdx=2 oIdx=0 buffer=0 iui=0
_ds_load_u16_d16_hi v212, v[vgprLocalReadAddrA] offset:768 // L -> Reg lro=0 swapByteOffset=0 ti=128 vIdx=0 rIdx=3 oIdx=0 buffer=0 iui=0
	;; [unrolled: 2-line block ×4, first 2 shown]


/* local read prefetch b */

_ds_load_u16 v[vgprValuB_X0_I0+0], v[vgprLocalReadAddrB] offset:0 // L -> Reg lro=0 swapByteOffset=0 ti=128 vIdx=0 rIdx=0 oIdx=0 buffer=0 iui=0
_ds_load_u16_d16_hi v215, v[vgprLocalReadAddrB] offset:512 // L -> Reg lro=0 swapByteOffset=0 ti=128 vIdx=0 rIdx=1 oIdx=0 buffer=0 iui=0
_ds_load_u16 v[vgprValuB_X0_I0+1], v[vgprLocalReadAddrB] offset:1024 // L -> Reg lro=0 swapByteOffset=0 ti=128 vIdx=0 rIdx=2 oIdx=0 buffer=0 iui=0
_ds_load_u16_d16_hi v216, v[vgprLocalReadAddrB] offset:1536 // L -> Reg lro=0 swapByteOffset=0 ti=128 vIdx=0 rIdx=3 oIdx=0 buffer=0 iui=0
	;; [unrolled: 2-line block ×8, first 2 shown]


/* local read inc a */

/* N/A, lro->1024 */
/* self.localReadDoCntA 1 self.localReadDoCntB 1 */


/* local read inc b */

/* N/A, lro->2048 */
/* self.localReadDoCntA 1 self.localReadDoCntB 1 */


	;; [unrolled: 1-line block ×3, first 2 shown]
/******************************************/
/* Unrolled Loop(s) - Begin               */
/******************************************/

openLoopL_12:
s_cmp_le_u32 s[sgprLoopCounterL], 0x1              // LoopCounterL < EndCounter
s_cbranch_scc1 LoopEndL_2                          // do not enter LoopL
LoopBeginL_1:


/******************************************/
/* Unrolled Loop 1/2 - Begin              */
/******************************************/

label_0013: // LoopCopy1 


/* Begin Each Unroll: Check VGPR.checkin for INT8 LW */


	;; [unrolled: 1-line block ×3, first 2 shown]
/* iter 0 */

/*  grEndMfmaIndex:5, lwStartMfmaIndex:20, lwEndMfmaIndex:25  */
/*  numMfmaForLR:4, barrierMfmaIndex:27 */
/*  mfmaIndex:0  */
_buffer_load_b128 v[vgprG2LA+0:vgprG2LA+0+3], v[vgprGlobalReadOffsetA+0], s[sgprSrdA:sgprSrdA+3], 0, offen offset:0 // G -> Reg 0_0_0_0
s_waitcnt lgkmcnt(0)                               // lgkmcnt=0 vmcnt=-1wait for prior local read local write old=0, new=0 newLW=0 newLR=0
/* pack scheduling: packAIdx:2, packBIdx:2 */
v_or_b32 v[vgprValuA_X0_I0+0], v[vgprValuA_X0_I0+0], v211 // pack two half Vgpr to one Vgpr
v_or_b32 v[vgprValuA_X0_I0+1], v[vgprValuA_X0_I0+1], v212 // pack two half Vgpr to one Vgpr
v_or_b32 v[vgprValuB_X0_I0+0], v[vgprValuB_X0_I0+0], v215 // pack two half Vgpr to one Vgpr
v_or_b32 v[vgprValuB_X0_I0+1], v[vgprValuB_X0_I0+1], v216 // pack two half Vgpr to one Vgpr
v_or_b32 v[vgprValuA_X0_I0+2], v[vgprValuA_X0_I0+2], v213 // pack two half Vgpr to one Vgpr
v_or_b32 v[vgprValuA_X0_I0+3], v[vgprValuA_X0_I0+3], v214 // pack two half Vgpr to one Vgpr
v_mfma_f32_32x32x8bf16_1k v[0+0:15+0], v[vgprValuB_X0_I0+0+0+0:vgprValuB_X0_I0+0+0+0+1], v[vgprValuA_X0_I0+0+0+0:vgprValuA_X0_I0+0+0+0+1], v[0:15]
/*  mfmaIndex:1  */
_ds_load_u16 v[vgprValuA_X1_I0+0], v[vgprLocalReadAddrA] offset:2048 // L -> Reg lro=1024 swapByteOffset=0 ti=128 vIdx=0 rIdx=0 oIdx=0 buffer=1 iui=0
_ds_load_u16_d16_hi v223, v[vgprLocalReadAddrA] offset:2304 // L -> Reg lro=1024 swapByteOffset=0 ti=128 vIdx=0 rIdx=1 oIdx=0 buffer=1 iui=0
_ds_load_u16 v[vgprValuA_X1_I0+1], v[vgprLocalReadAddrA] offset:2560 // L -> Reg lro=1024 swapByteOffset=0 ti=128 vIdx=0 rIdx=2 oIdx=0 buffer=1 iui=0
_ds_load_u16_d16_hi v224, v[vgprLocalReadAddrA] offset:2816 // L -> Reg lro=1024 swapByteOffset=0 ti=128 vIdx=0 rIdx=3 oIdx=0 buffer=1 iui=0
_ds_load_u16 v[vgprValuB_X1_I0+0], v[vgprLocalReadAddrB] offset:4096 // L -> Reg lro=2048 swapByteOffset=0 ti=128 vIdx=0 rIdx=0 oIdx=0 buffer=1 iui=0
_ds_load_u16_d16_hi v227, v[vgprLocalReadAddrB] offset:4608 // L -> Reg lro=2048 swapByteOffset=0 ti=128 vIdx=0 rIdx=1 oIdx=0 buffer=1 iui=0
_buffer_load_b128 v[vgprG2LA+4:vgprG2LA+4+3], v[vgprGlobalReadOffsetA+1], s[sgprSrdA:sgprSrdA+3], 0, offen offset:0 // G -> Reg 0_0_1_0
/* pack scheduling: packAIdx:4, packBIdx:2 */
v_or_b32 v[vgprValuB_X0_I0+2], v[vgprValuB_X0_I0+2], v217 // pack two half Vgpr to one Vgpr
v_or_b32 v[vgprValuB_X0_I0+3], v[vgprValuB_X0_I0+3], v218 // pack two half Vgpr to one Vgpr
	;; [unrolled: 1-line block ×4, first 2 shown]
v_mfma_f32_32x32x8bf16_1k v[16+0:31+0], v[vgprValuB_X0_I0+0+0+0:vgprValuB_X0_I0+0+0+0+1], v[vgprValuA_X0_I0+2+0+0:vgprValuA_X0_I0+2+0+0+1], v[16:31]
/*  mfmaIndex:2  */
_ds_load_u16 v[vgprValuB_X1_I0+1], v[vgprLocalReadAddrB] offset:5120 // L -> Reg lro=2048 swapByteOffset=0 ti=128 vIdx=0 rIdx=2 oIdx=0 buffer=1 iui=0
_ds_load_u16_d16_hi v228, v[vgprLocalReadAddrB] offset:5632 // L -> Reg lro=2048 swapByteOffset=0 ti=128 vIdx=0 rIdx=3 oIdx=0 buffer=1 iui=0
_ds_load_u16 v[vgprValuA_X1_I0+2], v[vgprLocalReadAddrA] offset:2050 // L -> Reg lro=1024 swapByteOffset=0 ti=128 vIdx=0 rIdx=0 oIdx=0 buffer=1 iui=0
_ds_load_u16_d16_hi v225, v[vgprLocalReadAddrA] offset:2306 // L -> Reg lro=1024 swapByteOffset=0 ti=128 vIdx=0 rIdx=1 oIdx=0 buffer=1 iui=0
_ds_load_u16 v[vgprValuA_X1_I0+3], v[vgprLocalReadAddrA] offset:2562 // L -> Reg lro=1024 swapByteOffset=0 ti=128 vIdx=0 rIdx=2 oIdx=0 buffer=1 iui=0
_ds_load_u16_d16_hi v226, v[vgprLocalReadAddrA] offset:2818 // L -> Reg lro=1024 swapByteOffset=0 ti=128 vIdx=0 rIdx=3 oIdx=0 buffer=1 iui=0
_buffer_load_b128 v[vgprG2LB+0:vgprG2LB+0+3], v[vgprGlobalReadOffsetB+0], s[sgprSrdB:sgprSrdB+3], 0, offen offset:0 // G -> Reg 0_0_0_0
/* pack scheduling: packAIdx:4, packBIdx:4 */
v_or_b32 v[vgprValuB_X0_I0+6], v[vgprValuB_X0_I0+6], v221 // pack two half Vgpr to one Vgpr
v_or_b32 v[vgprValuB_X0_I0+7], v[vgprValuB_X0_I0+7], v222 // pack two half Vgpr to one Vgpr
v_mfma_f32_32x32x8bf16_1k v[48+0:63+0], v[vgprValuB_X0_I0+2+0+0:vgprValuB_X0_I0+2+0+0+1], v[vgprValuA_X0_I0+2+0+0:vgprValuA_X0_I0+2+0+0+1], v[48:63]
/*  mfmaIndex:3  */
_ds_load_u16 v[vgprValuB_X1_I0+2], v[vgprLocalReadAddrB] offset:4098 // L -> Reg lro=2048 swapByteOffset=0 ti=128 vIdx=0 rIdx=0 oIdx=0 buffer=1 iui=0
_ds_load_u16_d16_hi v229, v[vgprLocalReadAddrB] offset:4610 // L -> Reg lro=2048 swapByteOffset=0 ti=128 vIdx=0 rIdx=1 oIdx=0 buffer=1 iui=0
_ds_load_u16 v[vgprValuB_X1_I0+3], v[vgprLocalReadAddrB] offset:5122 // L -> Reg lro=2048 swapByteOffset=0 ti=128 vIdx=0 rIdx=2 oIdx=0 buffer=1 iui=0
_ds_load_u16_d16_hi v230, v[vgprLocalReadAddrB] offset:5634 // L -> Reg lro=2048 swapByteOffset=0 ti=128 vIdx=0 rIdx=3 oIdx=0 buffer=1 iui=0
	;; [unrolled: 2-line block ×3, first 2 shown]
_buffer_load_b128 v[vgprG2LB+4:vgprG2LB+4+3], v[vgprGlobalReadOffsetB+1], s[sgprSrdB:sgprSrdB+3], 0, offen offset:0 // G -> Reg 0_0_1_0
v_mfma_f32_32x32x8bf16_1k v[32+0:47+0], v[vgprValuB_X0_I0+2+0+0:vgprValuB_X0_I0+2+0+0+1], v[vgprValuA_X0_I0+0+0+0:vgprValuA_X0_I0+0+0+0+1], v[32:47]
/*  mfmaIndex:4  */
_ds_load_u16 v[vgprValuB_X1_I0+5], v[vgprLocalReadAddrB] offset:5376 // L -> Reg lro=2048 swapByteOffset=0 ti=128 vIdx=1 rIdx=2 oIdx=0 buffer=1 iui=0
_ds_load_u16_d16_hi v232, v[vgprLocalReadAddrB] offset:5888 // L -> Reg lro=2048 swapByteOffset=0 ti=128 vIdx=1 rIdx=3 oIdx=0 buffer=1 iui=0
_ds_load_u16 v[vgprValuB_X1_I0+6], v[vgprLocalReadAddrB] offset:4354 // L -> Reg lro=2048 swapByteOffset=0 ti=128 vIdx=1 rIdx=0 oIdx=0 buffer=1 iui=0
_ds_load_u16_d16_hi v233, v[vgprLocalReadAddrB] offset:4866 // L -> Reg lro=2048 swapByteOffset=0 ti=128 vIdx=1 rIdx=1 oIdx=0 buffer=1 iui=0
	;; [unrolled: 2-line block ×3, first 2 shown]
/* localReadsVacancy: latencyLeft 1 */
_buffer_load_b128 v[vgprG2LB+8:vgprG2LB+8+3], v[vgprGlobalReadOffsetB+2], s[sgprSrdB:sgprSrdB+3], 0, offen offset:0 // G -> Reg 0_0_2_0
v_mfma_f32_32x32x8bf16_1k v[64+0:79+0], v[vgprValuB_X0_I0+4+0+0:vgprValuB_X0_I0+4+0+0+1], v[vgprValuA_X0_I0+0+0+0:vgprValuA_X0_I0+0+0+0+1], v[64:79]
/*  mfmaIndex:5  */
/* localReadsVacancy: latencyLeft 13 */
_ds_load_u16 v[vgprValuA_X2_I0+0], v[vgprLocalReadAddrA] offset:4096 // L -> Reg lro=2048 swapByteOffset=0 ti=128 vIdx=0 rIdx=0 oIdx=0 buffer=2 iui=0
_ds_load_u16 v[vgprValuA_X2_I0+1], v[vgprLocalReadAddrA] offset:4608 // L -> Reg lro=2048 swapByteOffset=0 ti=128 vIdx=0 rIdx=2 oIdx=0 buffer=2 iui=0
_ds_load_u16 v[vgprValuB_X2_I0+0], v[vgprLocalReadAddrB] offset:8192 // L -> Reg lro=4096 swapByteOffset=0 ti=128 vIdx=0 rIdx=0 oIdx=0 buffer=2 iui=0
_ds_load_u16 v[vgprValuB_X2_I0+1], v[vgprLocalReadAddrB] offset:9216 // L -> Reg lro=4096 swapByteOffset=0 ti=128 vIdx=0 rIdx=2 oIdx=0 buffer=2 iui=0
_ds_load_u16 v[vgprValuA_X2_I0+2], v[vgprLocalReadAddrA] offset:4098 // L -> Reg lro=2048 swapByteOffset=0 ti=128 vIdx=0 rIdx=0 oIdx=0 buffer=2 iui=0
_ds_load_u16 v[vgprValuA_X2_I0+3], v[vgprLocalReadAddrA] offset:4610 // L -> Reg lro=2048 swapByteOffset=0 ti=128 vIdx=0 rIdx=2 oIdx=0 buffer=2 iui=0
_buffer_load_b128 v[vgprG2LB+12:vgprG2LB+12+3], v[vgprGlobalReadOffsetB+3], s[sgprSrdB:sgprSrdB+3], 0, offen offset:0 // G -> Reg 0_0_3_0
v_mfma_f32_32x32x8bf16_1k v[80+0:95+0], v[vgprValuB_X0_I0+4+0+0:vgprValuB_X0_I0+4+0+0+1], v[vgprValuA_X0_I0+2+0+0:vgprValuA_X0_I0+2+0+0+1], v[80:95]
/*  mfmaIndex:6  */
/* localReadsVacancy: latencyLeft 13 */
_ds_load_u16 v[vgprValuB_X2_I0+2], v[vgprLocalReadAddrB] offset:8194 // L -> Reg lro=4096 swapByteOffset=0 ti=128 vIdx=0 rIdx=0 oIdx=0 buffer=2 iui=0
_ds_load_u16 v[vgprValuB_X2_I0+3], v[vgprLocalReadAddrB] offset:9218 // L -> Reg lro=4096 swapByteOffset=0 ti=128 vIdx=0 rIdx=2 oIdx=0 buffer=2 iui=0
	;; [unrolled: 1-line block ×6, first 2 shown]

/* global read inc A loopL */
s_add_u32 s[sgprSrdA+0], s[sgprSrdA+0], s[sgprGlobalReadIncsA+0] // gra SRD += inc(lower)
s_addc_u32  s[sgprSrdA+1], s[sgprSrdA+1], 0        // gra SRD += inc(upper)
s_sub_u32 s[sgprShadowLimitA+0], s[sgprShadowLimitA+0], s[sgprGlobalReadIncsA+0] // limit -= inc)
s_subb_u32 s[sgprShadowLimitA+1], s[sgprShadowLimitA+1], 0 // limit -= inc)
s_cmp_eq_u32 s[sgprShadowLimitA+1], 0              // are we within 2^32?
s_cmov_b32 s[sgprSrdA+2], s[sgprShadowLimitA+0]    // Move shadow to real if we are within 2^32

/* global read inc B loopL */
s_add_u32 s[sgprSrdB+0], s[sgprSrdB+0], s[sgprGlobalReadIncsB+0] // gra SRD += inc(lower)
v_mfma_f32_32x32x8bf16_1k v[112+0:127+0], v[vgprValuB_X0_I0+6+0+0:vgprValuB_X0_I0+6+0+0+1], v[vgprValuA_X0_I0+2+0+0:vgprValuA_X0_I0+2+0+0+1], v[112:127]
/*  mfmaIndex:7  */
/* localReadsVacancy: latencyLeft 13 */
_ds_load_u16 v[vgprValuA_X3_I0+0], v[vgprLocalReadAddrA] offset:6144 // L -> Reg lro=3072 swapByteOffset=0 ti=128 vIdx=0 rIdx=0 oIdx=0 buffer=3 iui=0
_ds_load_u16 v[vgprValuA_X3_I0+1], v[vgprLocalReadAddrA] offset:6656 // L -> Reg lro=3072 swapByteOffset=0 ti=128 vIdx=0 rIdx=2 oIdx=0 buffer=3 iui=0
_ds_load_u16 v[vgprValuB_X3_I0+0], v[vgprLocalReadAddrB] offset:12288 // L -> Reg lro=6144 swapByteOffset=0 ti=128 vIdx=0 rIdx=0 oIdx=0 buffer=3 iui=0
_ds_load_u16 v[vgprValuB_X3_I0+1], v[vgprLocalReadAddrB] offset:13312 // L -> Reg lro=6144 swapByteOffset=0 ti=128 vIdx=0 rIdx=2 oIdx=0 buffer=3 iui=0
_ds_load_u16 v[vgprValuA_X3_I0+2], v[vgprLocalReadAddrA] offset:6146 // L -> Reg lro=3072 swapByteOffset=0 ti=128 vIdx=0 rIdx=0 oIdx=0 buffer=3 iui=0
_ds_load_u16 v[vgprValuA_X3_I0+3], v[vgprLocalReadAddrA] offset:6658 // L -> Reg lro=3072 swapByteOffset=0 ti=128 vIdx=0 rIdx=2 oIdx=0 buffer=3 iui=0
s_addc_u32  s[sgprSrdB+1], s[sgprSrdB+1], 0        // gra SRD += inc(upper)
s_sub_u32 s[sgprShadowLimitB+0], s[sgprShadowLimitB+0], s[sgprGlobalReadIncsB+0] // limit -= inc)
s_subb_u32 s[sgprShadowLimitB+1], s[sgprShadowLimitB+1], 0 // limit -= inc)
s_cmp_eq_u32 s[sgprShadowLimitB+1], 0              // are we within 2^32?
s_cmov_b32 s[sgprSrdB+2], s[sgprShadowLimitB+0]    // Move shadow to real if we are within 2^32
v_mfma_f32_32x32x8bf16_1k v[96+0:111+0], v[vgprValuB_X0_I0+6+0+0:vgprValuB_X0_I0+6+0+0+1], v[vgprValuA_X0_I0+0+0+0:vgprValuA_X0_I0+0+0+0+1], v[96:111]
/* numPrefetchIter=0 */
/* dataAtIterA=-1 numReadsIterA=1 skipReadsIterA=1 readsPerIterA=8 */
/* dataAtIterB=-1 numReadsIterB=1 skipReadsIterB=1 readsPerIterB=16 */


/* iter 1 */

/*  grEndMfmaIndex:5, lwStartMfmaIndex:20, lwEndMfmaIndex:25  */
/*  numMfmaForLR:4, barrierMfmaIndex:27 */
/*  mfmaIndex:8  */
_ds_load_u16_d16_hi v211, v[vgprLocalReadAddrA] offset:4352 // L -> Reg lro=2048 swapByteOffset=0 ti=128 vIdx=0 rIdx=1 oIdx=0 buffer=2 iui=0
_ds_load_u16_d16_hi v212, v[vgprLocalReadAddrA] offset:4864 // L -> Reg lro=2048 swapByteOffset=0 ti=128 vIdx=0 rIdx=3 oIdx=0 buffer=2 iui=0
_ds_load_u16_d16_hi v215, v[vgprLocalReadAddrB] offset:8704 // L -> Reg lro=4096 swapByteOffset=0 ti=128 vIdx=0 rIdx=1 oIdx=0 buffer=2 iui=0
_ds_load_u16_d16_hi v216, v[vgprLocalReadAddrB] offset:9728 // L -> Reg lro=4096 swapByteOffset=0 ti=128 vIdx=0 rIdx=3 oIdx=0 buffer=2 iui=0
_ds_load_u16_d16_hi v213, v[vgprLocalReadAddrA] offset:4354 // L -> Reg lro=2048 swapByteOffset=0 ti=128 vIdx=0 rIdx=1 oIdx=0 buffer=2 iui=0
_ds_load_u16_d16_hi v214, v[vgprLocalReadAddrA] offset:4866 // L -> Reg lro=2048 swapByteOffset=0 ti=128 vIdx=0 rIdx=3 oIdx=0 buffer=2 iui=0
s_waitcnt lgkmcnt(15)                              // lgkmcnt=0 vmcnt=-1wait for prior local read local write old=12, new=18 newLW=0 newLR=6
/* pack scheduling: packAIdx:2, packBIdx:2 */
v_or_b32 v[vgprValuA_X1_I0+0], v[vgprValuA_X1_I0+0], v223 // pack two half Vgpr to one Vgpr
v_or_b32 v[vgprValuA_X1_I0+1], v[vgprValuA_X1_I0+1], v224 // pack two half Vgpr to one Vgpr
v_or_b32 v[vgprValuB_X1_I0+0], v[vgprValuB_X1_I0+0], v227 // pack two half Vgpr to one Vgpr
v_or_b32 v[vgprValuB_X1_I0+1], v[vgprValuB_X1_I0+1], v228 // pack two half Vgpr to one Vgpr
v_or_b32 v[vgprValuA_X1_I0+2], v[vgprValuA_X1_I0+2], v225 // pack two half Vgpr to one Vgpr
v_or_b32 v[vgprValuA_X1_I0+3], v[vgprValuA_X1_I0+3], v226 // pack two half Vgpr to one Vgpr
v_mfma_f32_32x32x8bf16_1k v[0+0:15+0], v[vgprValuB_X1_I0+0+0+0:vgprValuB_X1_I0+0+0+0+1], v[vgprValuA_X1_I0+0+0+0:vgprValuA_X1_I0+0+0+0+1], v[0:15]
/*  mfmaIndex:9  */
_ds_load_u16_d16_hi v217, v[vgprLocalReadAddrB] offset:8706 // L -> Reg lro=4096 swapByteOffset=0 ti=128 vIdx=0 rIdx=1 oIdx=0 buffer=2 iui=0
_ds_load_u16_d16_hi v218, v[vgprLocalReadAddrB] offset:9730 // L -> Reg lro=4096 swapByteOffset=0 ti=128 vIdx=0 rIdx=3 oIdx=0 buffer=2 iui=0
	;; [unrolled: 1-line block ×6, first 2 shown]
/* localReadsVacancy: latencyLeft 1 */
/* pack scheduling: packAIdx:4, packBIdx:2 */
v_or_b32 v[vgprValuB_X1_I0+2], v[vgprValuB_X1_I0+2], v229 // pack two half Vgpr to one Vgpr
v_or_b32 v[vgprValuB_X1_I0+3], v[vgprValuB_X1_I0+3], v230 // pack two half Vgpr to one Vgpr
	;; [unrolled: 1-line block ×4, first 2 shown]
v_mfma_f32_32x32x8bf16_1k v[16+0:31+0], v[vgprValuB_X1_I0+0+0+0:vgprValuB_X1_I0+0+0+0+1], v[vgprValuA_X1_I0+2+0+0:vgprValuA_X1_I0+2+0+0+1], v[16:31]
/*  mfmaIndex:10  */
/* localReadsVacancy: latencyLeft 13 */
_ds_load_u16 v[vgprValuB_X3_I0+2], v[vgprLocalReadAddrB] offset:12290 // L -> Reg lro=6144 swapByteOffset=0 ti=128 vIdx=0 rIdx=0 oIdx=0 buffer=3 iui=0
_ds_load_u16 v[vgprValuB_X3_I0+3], v[vgprLocalReadAddrB] offset:13314 // L -> Reg lro=6144 swapByteOffset=0 ti=128 vIdx=0 rIdx=2 oIdx=0 buffer=3 iui=0
	;; [unrolled: 1-line block ×6, first 2 shown]
/* pack scheduling: packAIdx:4, packBIdx:4 */
v_or_b32 v[vgprValuB_X1_I0+6], v[vgprValuB_X1_I0+6], v233 // pack two half Vgpr to one Vgpr
v_or_b32 v[vgprValuB_X1_I0+7], v[vgprValuB_X1_I0+7], v234 // pack two half Vgpr to one Vgpr
v_mfma_f32_32x32x8bf16_1k v[48+0:63+0], v[vgprValuB_X1_I0+2+0+0:vgprValuB_X1_I0+2+0+0+1], v[vgprValuA_X1_I0+2+0+0:vgprValuA_X1_I0+2+0+0+1], v[48:63]
/*  mfmaIndex:11  */
/* localReadsVacancy: latencyLeft 13 */
v_mfma_f32_32x32x8bf16_1k v[32+0:47+0], v[vgprValuB_X1_I0+2+0+0:vgprValuB_X1_I0+2+0+0+1], v[vgprValuA_X1_I0+0+0+0:vgprValuA_X1_I0+0+0+0+1], v[32:47]
/*  mfmaIndex:12  */
/* localReadsVacancy: latencyLeft 13 */
	;; [unrolled: 3-line block ×5, first 2 shown]
v_mfma_f32_32x32x8bf16_1k v[96+0:111+0], v[vgprValuB_X1_I0+6+0+0:vgprValuB_X1_I0+6+0+0+1], v[vgprValuA_X1_I0+0+0+0:vgprValuA_X1_I0+0+0+0+1], v[96:111]
/* numPrefetchIter=0 */
/* dataAtIterA=0 numReadsIterA=2 skipReadsIterA=1 readsPerIterA=8 */
/* dataAtIterB=0 numReadsIterB=2 skipReadsIterB=1 readsPerIterB=16 */


/* iter 2 (reset local read pointers iteration)  (swap local read pointers iteration)  */

/*  grEndMfmaIndex:5, lwStartMfmaIndex:20, lwEndMfmaIndex:25  */
/*  numMfmaForLR:4, barrierMfmaIndex:27 */
/*  mfmaIndex:16  */
_ds_load_u16_d16_hi v223, v[vgprLocalReadAddrA] offset:6400 // L -> Reg lro=3072 swapByteOffset=0 ti=128 vIdx=0 rIdx=1 oIdx=0 buffer=3 iui=0
_ds_load_u16_d16_hi v224, v[vgprLocalReadAddrA] offset:6912 // L -> Reg lro=3072 swapByteOffset=0 ti=128 vIdx=0 rIdx=3 oIdx=0 buffer=3 iui=0
_ds_load_u16_d16_hi v227, v[vgprLocalReadAddrB] offset:12800 // L -> Reg lro=6144 swapByteOffset=0 ti=128 vIdx=0 rIdx=1 oIdx=0 buffer=3 iui=0
_ds_load_u16_d16_hi v228, v[vgprLocalReadAddrB] offset:13824 // L -> Reg lro=6144 swapByteOffset=0 ti=128 vIdx=0 rIdx=3 oIdx=0 buffer=3 iui=0
_ds_load_u16_d16_hi v225, v[vgprLocalReadAddrA] offset:6402 // L -> Reg lro=3072 swapByteOffset=0 ti=128 vIdx=0 rIdx=1 oIdx=0 buffer=3 iui=0
_ds_load_u16_d16_hi v226, v[vgprLocalReadAddrA] offset:6914 // L -> Reg lro=3072 swapByteOffset=0 ti=128 vIdx=0 rIdx=3 oIdx=0 buffer=3 iui=0
s_waitcnt lgkmcnt(12)                              // lgkmcnt=0 vmcnt=-1wait for prior local read local write old=6, new=12 newLW=0 newLR=6
/* pack scheduling: packAIdx:2, packBIdx:2 */
v_or_b32 v[vgprValuA_X2_I0+0], v[vgprValuA_X2_I0+0], v211 // pack two half Vgpr to one Vgpr
v_or_b32 v[vgprValuA_X2_I0+1], v[vgprValuA_X2_I0+1], v212 // pack two half Vgpr to one Vgpr
v_or_b32 v[vgprValuB_X2_I0+0], v[vgprValuB_X2_I0+0], v215 // pack two half Vgpr to one Vgpr
v_or_b32 v[vgprValuB_X2_I0+1], v[vgprValuB_X2_I0+1], v216 // pack two half Vgpr to one Vgpr
v_or_b32 v[vgprValuA_X2_I0+2], v[vgprValuA_X2_I0+2], v213 // pack two half Vgpr to one Vgpr
v_or_b32 v[vgprValuA_X2_I0+3], v[vgprValuA_X2_I0+3], v214 // pack two half Vgpr to one Vgpr
v_mfma_f32_32x32x8bf16_1k v[0+0:15+0], v[vgprValuB_X2_I0+0+0+0:vgprValuB_X2_I0+0+0+0+1], v[vgprValuA_X2_I0+0+0+0:vgprValuA_X2_I0+0+0+0+1], v[0:15]
/*  mfmaIndex:17  */
_ds_load_u16_d16_hi v229, v[vgprLocalReadAddrB] offset:12802 // L -> Reg lro=6144 swapByteOffset=0 ti=128 vIdx=0 rIdx=1 oIdx=0 buffer=3 iui=0
_ds_load_u16_d16_hi v230, v[vgprLocalReadAddrB] offset:13826 // L -> Reg lro=6144 swapByteOffset=0 ti=128 vIdx=0 rIdx=3 oIdx=0 buffer=3 iui=0
	;; [unrolled: 1-line block ×6, first 2 shown]
/* localReadsVacancy: latencyLeft 1 */
/* pack scheduling: packAIdx:4, packBIdx:2 */
v_or_b32 v[vgprValuB_X2_I0+2], v[vgprValuB_X2_I0+2], v217 // pack two half Vgpr to one Vgpr
v_or_b32 v[vgprValuB_X2_I0+3], v[vgprValuB_X2_I0+3], v218 // pack two half Vgpr to one Vgpr
	;; [unrolled: 1-line block ×4, first 2 shown]
v_mfma_f32_32x32x8bf16_1k v[16+0:31+0], v[vgprValuB_X2_I0+0+0+0:vgprValuB_X2_I0+0+0+0+1], v[vgprValuA_X2_I0+2+0+0:vgprValuA_X2_I0+2+0+0+1], v[16:31]
/*  mfmaIndex:18  */
/* localReadsVacancy: latencyLeft 13 */
/* pack scheduling: packAIdx:4, packBIdx:4 */
v_or_b32 v[vgprValuB_X2_I0+6], v[vgprValuB_X2_I0+6], v221 // pack two half Vgpr to one Vgpr
v_or_b32 v[vgprValuB_X2_I0+7], v[vgprValuB_X2_I0+7], v222 // pack two half Vgpr to one Vgpr
v_mfma_f32_32x32x8bf16_1k v[48+0:63+0], v[vgprValuB_X2_I0+2+0+0:vgprValuB_X2_I0+2+0+0+1], v[vgprValuA_X2_I0+2+0+0:vgprValuA_X2_I0+2+0+0+1], v[48:63]
/*  mfmaIndex:19  */
/* localReadsVacancy: latencyLeft 13 */
/* 1 LDS buffer: read-sync-write */
s_waitcnt lgkmcnt(0)                               // 
s_barrier                                          // 
v_mfma_f32_32x32x8bf16_1k v[32+0:47+0], v[vgprValuB_X2_I0+2+0+0:vgprValuB_X2_I0+2+0+0+1], v[vgprValuA_X2_I0+0+0+0:vgprValuA_X2_I0+0+0+0+1], v[32:47]
/*  mfmaIndex:20  */
/* localReadsVacancy: latencyLeft 3 */
/* sched write - iter 2 writesPerItem=1 */
s_waitcnt vmcnt(0)                                 // lgkmcnt=-1 vmcnt=0wait for global read before writing to local
_ds_store_b128 v[vgprLocalWriteAddrA], v[vgprG2LA+0:vgprG2LA+0+3] offset:0 // lwoA_0_0_0_0 = (0*LSCA) + (0*LSPA)(*MT0I+PAD) = 0
v_mfma_f32_32x32x8bf16_1k v[64+0:79+0], v[vgprValuB_X2_I0+4+0+0:vgprValuB_X2_I0+4+0+0+1], v[vgprValuA_X2_I0+0+0+0:vgprValuA_X2_I0+0+0+0+1], v[64:79]
/*  mfmaIndex:21  */
/* sched write - iter 2 writesPerItem=1 */
s_waitcnt vmcnt(0)                                 // lgkmcnt=-1 vmcnt=0wait for global read before writing to local
_ds_store_b128 v[vgprLocalWriteAddrA], v[vgprG2LA+4:vgprG2LA+4+3] offset:4096 // lwoA_0_0_1_0 = (0*LSCA) + (1*LSPA)(*MT0I+PAD) = 4096
v_mfma_f32_32x32x8bf16_1k v[80+0:95+0], v[vgprValuB_X2_I0+4+0+0:vgprValuB_X2_I0+4+0+0+1], v[vgprValuA_X2_I0+2+0+0:vgprValuA_X2_I0+2+0+0+1], v[80:95]
/*  mfmaIndex:22  */
/* sched write - iter 2 writesPerItem=1 */
s_waitcnt vmcnt(0)                                 // lgkmcnt=-1 vmcnt=0wait for global read before writing to local
_ds_store_b128 v[vgprLocalWriteAddrB], v[vgprG2LB+0:vgprG2LB+0+3] offset:0 // lwoB_0_0_0_0 = (0*LSCB) + (0*LSPB)(*MT1J+PAD) = 0
v_mfma_f32_32x32x8bf16_1k v[112+0:127+0], v[vgprValuB_X2_I0+6+0+0:vgprValuB_X2_I0+6+0+0+1], v[vgprValuA_X2_I0+2+0+0:vgprValuA_X2_I0+2+0+0+1], v[112:127]
/*  mfmaIndex:23  */
/* sched write - iter 2 writesPerItem=1 */
s_waitcnt vmcnt(0)                                 // lgkmcnt=-1 vmcnt=0wait for global read before writing to local
_ds_store_b128 v[vgprLocalWriteAddrB], v[vgprG2LB+4:vgprG2LB+4+3] offset:4096 // lwoB_0_0_1_0 = (0*LSCB) + (1*LSPB)(*MT1J+PAD) = 4096

/* local read swap offsets a */

/* local read swap offsets b */

/* local read init pointers a */

/* localReadInitPointers */

/* local read init pointers b */

/* localReadInitPointers */
v_mfma_f32_32x32x8bf16_1k v[96+0:111+0], v[vgprValuB_X2_I0+6+0+0:vgprValuB_X2_I0+6+0+0+1], v[vgprValuA_X2_I0+0+0+0:vgprValuA_X2_I0+0+0+0+1], v[96:111]
/* numPrefetchIter=0 */
/* dataAtIterA=1 numReadsIterA=3 skipReadsIterA=1 readsPerIterA=8 */
/* dataAtIterB=1 numReadsIterB=3 skipReadsIterB=1 readsPerIterB=16 */


/* iter 3 (swap and reset local write pointers iteration)  */

/*  grEndMfmaIndex:5, lwStartMfmaIndex:20, lwEndMfmaIndex:25  */
/*  numMfmaForLR:4, barrierMfmaIndex:27 */
/*  mfmaIndex:24  */
/* sched write - iter 3 writesPerItem=1 */
s_waitcnt vmcnt(0)                                 // lgkmcnt=-1 vmcnt=0wait for global read before writing to local
_ds_store_b128 v[vgprLocalWriteAddrB], v[vgprG2LB+8:vgprG2LB+8+3] offset:8192 // lwoB_0_0_2_0 = (0*LSCB) + (2*LSPB)(*MT1J+PAD) = 8192
/* pack scheduling: packAIdx:2, packBIdx:2 */
v_or_b32 v[vgprValuA_X3_I0+0], v[vgprValuA_X3_I0+0], v223 // pack two half Vgpr to one Vgpr
v_or_b32 v[vgprValuA_X3_I0+1], v[vgprValuA_X3_I0+1], v224 // pack two half Vgpr to one Vgpr
v_or_b32 v[vgprValuB_X3_I0+0], v[vgprValuB_X3_I0+0], v227 // pack two half Vgpr to one Vgpr
v_or_b32 v[vgprValuB_X3_I0+1], v[vgprValuB_X3_I0+1], v228 // pack two half Vgpr to one Vgpr
v_or_b32 v[vgprValuA_X3_I0+2], v[vgprValuA_X3_I0+2], v225 // pack two half Vgpr to one Vgpr
v_or_b32 v[vgprValuA_X3_I0+3], v[vgprValuA_X3_I0+3], v226 // pack two half Vgpr to one Vgpr
v_mfma_f32_32x32x8bf16_1k v[0+0:15+0], v[vgprValuB_X3_I0+0+0+0:vgprValuB_X3_I0+0+0+0+1], v[vgprValuA_X3_I0+0+0+0:vgprValuA_X3_I0+0+0+0+1], v[0:15]
/*  mfmaIndex:25  */
/* sched write - iter 3 writesPerItem=1 */
s_waitcnt vmcnt(0)                                 // lgkmcnt=-1 vmcnt=0wait for global read before writing to local
_ds_store_b128 v[vgprLocalWriteAddrB], v[vgprG2LB+12:vgprG2LB+12+3] offset:12288 // lwoB_0_0_3_0 = (0*LSCB) + (3*LSPB)(*MT1J+PAD) = 12288

/* local write swap offsets a */

/* local write swap offsets b */
/* pack scheduling: packAIdx:4, packBIdx:2 */
v_or_b32 v[vgprValuB_X3_I0+2], v[vgprValuB_X3_I0+2], v229 // pack two half Vgpr to one Vgpr
v_or_b32 v[vgprValuB_X3_I0+3], v[vgprValuB_X3_I0+3], v230 // pack two half Vgpr to one Vgpr
	;; [unrolled: 1-line block ×4, first 2 shown]
v_mfma_f32_32x32x8bf16_1k v[16+0:31+0], v[vgprValuB_X3_I0+0+0+0:vgprValuB_X3_I0+0+0+0+1], v[vgprValuA_X3_I0+2+0+0:vgprValuA_X3_I0+2+0+0+1], v[16:31]
/*  mfmaIndex:26  */
/* pack scheduling: packAIdx:4, packBIdx:4 */
v_or_b32 v[vgprValuB_X3_I0+6], v[vgprValuB_X3_I0+6], v233 // pack two half Vgpr to one Vgpr
v_or_b32 v[vgprValuB_X3_I0+7], v[vgprValuB_X3_I0+7], v234 // pack two half Vgpr to one Vgpr
v_mfma_f32_32x32x8bf16_1k v[48+0:63+0], v[vgprValuB_X3_I0+2+0+0:vgprValuB_X3_I0+2+0+0+1], v[vgprValuA_X3_I0+2+0+0:vgprValuA_X3_I0+2+0+0+1], v[48:63]
/*  mfmaIndex:27  */
s_waitcnt lgkmcnt(0)                               // lgkmcnt=0 vmcnt=-13wait for local write
s_waitcnt lgkmcnt(0) & vmcnt(0)                    // force waitcnt0
s_barrier //
v_mfma_f32_32x32x8bf16_1k v[32+0:47+0], v[vgprValuB_X3_I0+2+0+0:vgprValuB_X3_I0+2+0+0+1], v[vgprValuA_X3_I0+0+0+0:vgprValuA_X3_I0+0+0+0+1], v[32:47]
/*  mfmaIndex:28  */
_ds_load_u16 v[vgprValuA_X0_I0+0], v[vgprLocalReadAddrA] offset:0 // L -> Reg lro=0 swapByteOffset=0 ti=128 vIdx=0 rIdx=0 oIdx=0 buffer=0 iui=0
_ds_load_u16_d16_hi v211, v[vgprLocalReadAddrA] offset:256 // L -> Reg lro=0 swapByteOffset=0 ti=128 vIdx=0 rIdx=1 oIdx=0 buffer=0 iui=0
_ds_load_u16 v[vgprValuA_X0_I0+1], v[vgprLocalReadAddrA] offset:512 // L -> Reg lro=0 swapByteOffset=0 ti=128 vIdx=0 rIdx=2 oIdx=0 buffer=0 iui=0
_ds_load_u16_d16_hi v212, v[vgprLocalReadAddrA] offset:768 // L -> Reg lro=0 swapByteOffset=0 ti=128 vIdx=0 rIdx=3 oIdx=0 buffer=0 iui=0
_ds_load_u16 v[vgprValuB_X0_I0+0], v[vgprLocalReadAddrB] offset:0 // L -> Reg lro=0 swapByteOffset=0 ti=128 vIdx=0 rIdx=0 oIdx=0 buffer=0 iui=0
_ds_load_u16_d16_hi v215, v[vgprLocalReadAddrB] offset:512 // L -> Reg lro=0 swapByteOffset=0 ti=128 vIdx=0 rIdx=1 oIdx=0 buffer=0 iui=0
v_mfma_f32_32x32x8bf16_1k v[64+0:79+0], v[vgprValuB_X3_I0+4+0+0:vgprValuB_X3_I0+4+0+0+1], v[vgprValuA_X3_I0+0+0+0:vgprValuA_X3_I0+0+0+0+1], v[64:79]
/*  mfmaIndex:29  */
_ds_load_u16 v[vgprValuB_X0_I0+1], v[vgprLocalReadAddrB] offset:1024 // L -> Reg lro=0 swapByteOffset=0 ti=128 vIdx=0 rIdx=2 oIdx=0 buffer=0 iui=0
_ds_load_u16_d16_hi v216, v[vgprLocalReadAddrB] offset:1536 // L -> Reg lro=0 swapByteOffset=0 ti=128 vIdx=0 rIdx=3 oIdx=0 buffer=0 iui=0
_ds_load_u16 v[vgprValuA_X0_I0+2], v[vgprLocalReadAddrA] offset:2 // L -> Reg lro=0 swapByteOffset=0 ti=128 vIdx=0 rIdx=0 oIdx=0 buffer=0 iui=0
_ds_load_u16_d16_hi v213, v[vgprLocalReadAddrA] offset:258 // L -> Reg lro=0 swapByteOffset=0 ti=128 vIdx=0 rIdx=1 oIdx=0 buffer=0 iui=0
_ds_load_u16 v[vgprValuA_X0_I0+3], v[vgprLocalReadAddrA] offset:514 // L -> Reg lro=0 swapByteOffset=0 ti=128 vIdx=0 rIdx=2 oIdx=0 buffer=0 iui=0
_ds_load_u16_d16_hi v214, v[vgprLocalReadAddrA] offset:770 // L -> Reg lro=0 swapByteOffset=0 ti=128 vIdx=0 rIdx=3 oIdx=0 buffer=0 iui=0
v_mfma_f32_32x32x8bf16_1k v[80+0:95+0], v[vgprValuB_X3_I0+4+0+0:vgprValuB_X3_I0+4+0+0+1], v[vgprValuA_X3_I0+2+0+0:vgprValuA_X3_I0+2+0+0+1], v[80:95]
/*  mfmaIndex:30  */
_ds_load_u16 v[vgprValuB_X0_I0+2], v[vgprLocalReadAddrB] offset:2 // L -> Reg lro=0 swapByteOffset=0 ti=128 vIdx=0 rIdx=0 oIdx=0 buffer=0 iui=0
_ds_load_u16_d16_hi v217, v[vgprLocalReadAddrB] offset:514 // L -> Reg lro=0 swapByteOffset=0 ti=128 vIdx=0 rIdx=1 oIdx=0 buffer=0 iui=0
_ds_load_u16 v[vgprValuB_X0_I0+3], v[vgprLocalReadAddrB] offset:1026 // L -> Reg lro=0 swapByteOffset=0 ti=128 vIdx=0 rIdx=2 oIdx=0 buffer=0 iui=0
_ds_load_u16_d16_hi v218, v[vgprLocalReadAddrB] offset:1538 // L -> Reg lro=0 swapByteOffset=0 ti=128 vIdx=0 rIdx=3 oIdx=0 buffer=0 iui=0
	;; [unrolled: 2-line block ×3, first 2 shown]
v_mfma_f32_32x32x8bf16_1k v[112+0:127+0], v[vgprValuB_X3_I0+6+0+0:vgprValuB_X3_I0+6+0+0+1], v[vgprValuA_X3_I0+2+0+0:vgprValuA_X3_I0+2+0+0+1], v[112:127]
/*  mfmaIndex:31  */
_ds_load_u16 v[vgprValuB_X0_I0+5], v[vgprLocalReadAddrB] offset:1280 // L -> Reg lro=0 swapByteOffset=0 ti=128 vIdx=1 rIdx=2 oIdx=0 buffer=0 iui=0
_ds_load_u16_d16_hi v220, v[vgprLocalReadAddrB] offset:1792 // L -> Reg lro=0 swapByteOffset=0 ti=128 vIdx=1 rIdx=3 oIdx=0 buffer=0 iui=0
_ds_load_u16 v[vgprValuB_X0_I0+6], v[vgprLocalReadAddrB] offset:258 // L -> Reg lro=0 swapByteOffset=0 ti=128 vIdx=1 rIdx=0 oIdx=0 buffer=0 iui=0
_ds_load_u16_d16_hi v221, v[vgprLocalReadAddrB] offset:770 // L -> Reg lro=0 swapByteOffset=0 ti=128 vIdx=1 rIdx=1 oIdx=0 buffer=0 iui=0
	;; [unrolled: 2-line block ×3, first 2 shown]
v_mfma_f32_32x32x8bf16_1k v[96+0:111+0], v[vgprValuB_X3_I0+6+0+0:vgprValuB_X3_I0+6+0+0+1], v[vgprValuA_X3_I0+0+0+0:vgprValuA_X3_I0+0+0+0+1], v[96:111]


/******************************************/
/* Unrolled Loop - End 1/2                */
/******************************************/


/* closeLoop loopL finalLoop=0 tailLoop=0 */
s_sub_u32 s[sgprLoopCounterL], s[sgprLoopCounterL], 1 // dec counterL
s_cmp_eq_i32 s[sgprLoopCounterL], 0x1              // counterL==1
s_cbranch_scc1 LoopEndL_oddexit_3                  // exit LoopL


/******************************************/
/* Unrolled Loop 2/2 - Begin              */
/******************************************/

label_0014: // LoopCopy2 


/* Begin Each Unroll: Check VGPR.checkin for INT8 LW */


	;; [unrolled: 1-line block ×3, first 2 shown]
/* iter 0 */

/*  grEndMfmaIndex:5, lwStartMfmaIndex:20, lwEndMfmaIndex:25  */
/*  numMfmaForLR:4, barrierMfmaIndex:27 */
/*  mfmaIndex:0  */
_buffer_load_b128 v[vgprG2LA+0:vgprG2LA+0+3], v[vgprGlobalReadOffsetA+0], s[sgprSrdA:sgprSrdA+3], 0, offen offset:0 // G -> Reg 0_0_0_0
s_waitcnt lgkmcnt(0)                               // lgkmcnt=0 vmcnt=-1wait for prior local read local write old=0, new=0 newLW=0 newLR=0
/* pack scheduling: packAIdx:2, packBIdx:2 */
v_or_b32 v[vgprValuA_X0_I0+0], v[vgprValuA_X0_I0+0], v211 // pack two half Vgpr to one Vgpr
v_or_b32 v[vgprValuA_X0_I0+1], v[vgprValuA_X0_I0+1], v212 // pack two half Vgpr to one Vgpr
v_or_b32 v[vgprValuB_X0_I0+0], v[vgprValuB_X0_I0+0], v215 // pack two half Vgpr to one Vgpr
v_or_b32 v[vgprValuB_X0_I0+1], v[vgprValuB_X0_I0+1], v216 // pack two half Vgpr to one Vgpr
v_or_b32 v[vgprValuA_X0_I0+2], v[vgprValuA_X0_I0+2], v213 // pack two half Vgpr to one Vgpr
v_or_b32 v[vgprValuA_X0_I0+3], v[vgprValuA_X0_I0+3], v214 // pack two half Vgpr to one Vgpr
v_mfma_f32_32x32x8bf16_1k v[0+0:15+0], v[vgprValuB_X0_I0+0+0+0:vgprValuB_X0_I0+0+0+0+1], v[vgprValuA_X0_I0+0+0+0:vgprValuA_X0_I0+0+0+0+1], v[0:15]
/*  mfmaIndex:1  */
_ds_load_u16 v[vgprValuA_X1_I0+0], v[vgprLocalReadAddrA] offset:2048 // L -> Reg lro=1024 swapByteOffset=0 ti=128 vIdx=0 rIdx=0 oIdx=0 buffer=1 iui=0
_ds_load_u16_d16_hi v223, v[vgprLocalReadAddrA] offset:2304 // L -> Reg lro=1024 swapByteOffset=0 ti=128 vIdx=0 rIdx=1 oIdx=0 buffer=1 iui=0
_ds_load_u16 v[vgprValuA_X1_I0+1], v[vgprLocalReadAddrA] offset:2560 // L -> Reg lro=1024 swapByteOffset=0 ti=128 vIdx=0 rIdx=2 oIdx=0 buffer=1 iui=0
_ds_load_u16_d16_hi v224, v[vgprLocalReadAddrA] offset:2816 // L -> Reg lro=1024 swapByteOffset=0 ti=128 vIdx=0 rIdx=3 oIdx=0 buffer=1 iui=0
_ds_load_u16 v[vgprValuB_X1_I0+0], v[vgprLocalReadAddrB] offset:4096 // L -> Reg lro=2048 swapByteOffset=0 ti=128 vIdx=0 rIdx=0 oIdx=0 buffer=1 iui=0
_ds_load_u16_d16_hi v227, v[vgprLocalReadAddrB] offset:4608 // L -> Reg lro=2048 swapByteOffset=0 ti=128 vIdx=0 rIdx=1 oIdx=0 buffer=1 iui=0
_buffer_load_b128 v[vgprG2LA+4:vgprG2LA+4+3], v[vgprGlobalReadOffsetA+1], s[sgprSrdA:sgprSrdA+3], 0, offen offset:0 // G -> Reg 0_0_1_0
/* pack scheduling: packAIdx:4, packBIdx:2 */
v_or_b32 v[vgprValuB_X0_I0+2], v[vgprValuB_X0_I0+2], v217 // pack two half Vgpr to one Vgpr
v_or_b32 v[vgprValuB_X0_I0+3], v[vgprValuB_X0_I0+3], v218 // pack two half Vgpr to one Vgpr
	;; [unrolled: 1-line block ×4, first 2 shown]
v_mfma_f32_32x32x8bf16_1k v[16+0:31+0], v[vgprValuB_X0_I0+0+0+0:vgprValuB_X0_I0+0+0+0+1], v[vgprValuA_X0_I0+2+0+0:vgprValuA_X0_I0+2+0+0+1], v[16:31]
/*  mfmaIndex:2  */
_ds_load_u16 v[vgprValuB_X1_I0+1], v[vgprLocalReadAddrB] offset:5120 // L -> Reg lro=2048 swapByteOffset=0 ti=128 vIdx=0 rIdx=2 oIdx=0 buffer=1 iui=0
_ds_load_u16_d16_hi v228, v[vgprLocalReadAddrB] offset:5632 // L -> Reg lro=2048 swapByteOffset=0 ti=128 vIdx=0 rIdx=3 oIdx=0 buffer=1 iui=0
_ds_load_u16 v[vgprValuA_X1_I0+2], v[vgprLocalReadAddrA] offset:2050 // L -> Reg lro=1024 swapByteOffset=0 ti=128 vIdx=0 rIdx=0 oIdx=0 buffer=1 iui=0
_ds_load_u16_d16_hi v225, v[vgprLocalReadAddrA] offset:2306 // L -> Reg lro=1024 swapByteOffset=0 ti=128 vIdx=0 rIdx=1 oIdx=0 buffer=1 iui=0
_ds_load_u16 v[vgprValuA_X1_I0+3], v[vgprLocalReadAddrA] offset:2562 // L -> Reg lro=1024 swapByteOffset=0 ti=128 vIdx=0 rIdx=2 oIdx=0 buffer=1 iui=0
_ds_load_u16_d16_hi v226, v[vgprLocalReadAddrA] offset:2818 // L -> Reg lro=1024 swapByteOffset=0 ti=128 vIdx=0 rIdx=3 oIdx=0 buffer=1 iui=0
_buffer_load_b128 v[vgprG2LB+0:vgprG2LB+0+3], v[vgprGlobalReadOffsetB+0], s[sgprSrdB:sgprSrdB+3], 0, offen offset:0 // G -> Reg 0_0_0_0
/* pack scheduling: packAIdx:4, packBIdx:4 */
v_or_b32 v[vgprValuB_X0_I0+6], v[vgprValuB_X0_I0+6], v221 // pack two half Vgpr to one Vgpr
v_or_b32 v[vgprValuB_X0_I0+7], v[vgprValuB_X0_I0+7], v222 // pack two half Vgpr to one Vgpr
v_mfma_f32_32x32x8bf16_1k v[48+0:63+0], v[vgprValuB_X0_I0+2+0+0:vgprValuB_X0_I0+2+0+0+1], v[vgprValuA_X0_I0+2+0+0:vgprValuA_X0_I0+2+0+0+1], v[48:63]
/*  mfmaIndex:3  */
_ds_load_u16 v[vgprValuB_X1_I0+2], v[vgprLocalReadAddrB] offset:4098 // L -> Reg lro=2048 swapByteOffset=0 ti=128 vIdx=0 rIdx=0 oIdx=0 buffer=1 iui=0
_ds_load_u16_d16_hi v229, v[vgprLocalReadAddrB] offset:4610 // L -> Reg lro=2048 swapByteOffset=0 ti=128 vIdx=0 rIdx=1 oIdx=0 buffer=1 iui=0
_ds_load_u16 v[vgprValuB_X1_I0+3], v[vgprLocalReadAddrB] offset:5122 // L -> Reg lro=2048 swapByteOffset=0 ti=128 vIdx=0 rIdx=2 oIdx=0 buffer=1 iui=0
_ds_load_u16_d16_hi v230, v[vgprLocalReadAddrB] offset:5634 // L -> Reg lro=2048 swapByteOffset=0 ti=128 vIdx=0 rIdx=3 oIdx=0 buffer=1 iui=0
	;; [unrolled: 2-line block ×3, first 2 shown]
_buffer_load_b128 v[vgprG2LB+4:vgprG2LB+4+3], v[vgprGlobalReadOffsetB+1], s[sgprSrdB:sgprSrdB+3], 0, offen offset:0 // G -> Reg 0_0_1_0
v_mfma_f32_32x32x8bf16_1k v[32+0:47+0], v[vgprValuB_X0_I0+2+0+0:vgprValuB_X0_I0+2+0+0+1], v[vgprValuA_X0_I0+0+0+0:vgprValuA_X0_I0+0+0+0+1], v[32:47]
/*  mfmaIndex:4  */
_ds_load_u16 v[vgprValuB_X1_I0+5], v[vgprLocalReadAddrB] offset:5376 // L -> Reg lro=2048 swapByteOffset=0 ti=128 vIdx=1 rIdx=2 oIdx=0 buffer=1 iui=0
_ds_load_u16_d16_hi v232, v[vgprLocalReadAddrB] offset:5888 // L -> Reg lro=2048 swapByteOffset=0 ti=128 vIdx=1 rIdx=3 oIdx=0 buffer=1 iui=0
_ds_load_u16 v[vgprValuB_X1_I0+6], v[vgprLocalReadAddrB] offset:4354 // L -> Reg lro=2048 swapByteOffset=0 ti=128 vIdx=1 rIdx=0 oIdx=0 buffer=1 iui=0
_ds_load_u16_d16_hi v233, v[vgprLocalReadAddrB] offset:4866 // L -> Reg lro=2048 swapByteOffset=0 ti=128 vIdx=1 rIdx=1 oIdx=0 buffer=1 iui=0
_ds_load_u16 v[vgprValuB_X1_I0+7], v[vgprLocalReadAddrB] offset:5378 // L -> Reg lro=2048 swapByteOffset=0 ti=128 vIdx=1 rIdx=2 oIdx=0 buffer=1 iui=0
_ds_load_u16_d16_hi v234, v[vgprLocalReadAddrB] offset:5890 // L -> Reg lro=2048 swapByteOffset=0 ti=128 vIdx=1 rIdx=3 oIdx=0 buffer=1 iui=0
/* localReadsVacancy: latencyLeft 1 */
_buffer_load_b128 v[vgprG2LB+8:vgprG2LB+8+3], v[vgprGlobalReadOffsetB+2], s[sgprSrdB:sgprSrdB+3], 0, offen offset:0 // G -> Reg 0_0_2_0
v_mfma_f32_32x32x8bf16_1k v[64+0:79+0], v[vgprValuB_X0_I0+4+0+0:vgprValuB_X0_I0+4+0+0+1], v[vgprValuA_X0_I0+0+0+0:vgprValuA_X0_I0+0+0+0+1], v[64:79]
/*  mfmaIndex:5  */
/* localReadsVacancy: latencyLeft 13 */
_ds_load_u16 v[vgprValuA_X2_I0+0], v[vgprLocalReadAddrA] offset:4096 // L -> Reg lro=2048 swapByteOffset=0 ti=128 vIdx=0 rIdx=0 oIdx=0 buffer=2 iui=0
_ds_load_u16 v[vgprValuA_X2_I0+1], v[vgprLocalReadAddrA] offset:4608 // L -> Reg lro=2048 swapByteOffset=0 ti=128 vIdx=0 rIdx=2 oIdx=0 buffer=2 iui=0
_ds_load_u16 v[vgprValuB_X2_I0+0], v[vgprLocalReadAddrB] offset:8192 // L -> Reg lro=4096 swapByteOffset=0 ti=128 vIdx=0 rIdx=0 oIdx=0 buffer=2 iui=0
_ds_load_u16 v[vgprValuB_X2_I0+1], v[vgprLocalReadAddrB] offset:9216 // L -> Reg lro=4096 swapByteOffset=0 ti=128 vIdx=0 rIdx=2 oIdx=0 buffer=2 iui=0
_ds_load_u16 v[vgprValuA_X2_I0+2], v[vgprLocalReadAddrA] offset:4098 // L -> Reg lro=2048 swapByteOffset=0 ti=128 vIdx=0 rIdx=0 oIdx=0 buffer=2 iui=0
_ds_load_u16 v[vgprValuA_X2_I0+3], v[vgprLocalReadAddrA] offset:4610 // L -> Reg lro=2048 swapByteOffset=0 ti=128 vIdx=0 rIdx=2 oIdx=0 buffer=2 iui=0
_buffer_load_b128 v[vgprG2LB+12:vgprG2LB+12+3], v[vgprGlobalReadOffsetB+3], s[sgprSrdB:sgprSrdB+3], 0, offen offset:0 // G -> Reg 0_0_3_0
v_mfma_f32_32x32x8bf16_1k v[80+0:95+0], v[vgprValuB_X0_I0+4+0+0:vgprValuB_X0_I0+4+0+0+1], v[vgprValuA_X0_I0+2+0+0:vgprValuA_X0_I0+2+0+0+1], v[80:95]
/*  mfmaIndex:6  */
/* localReadsVacancy: latencyLeft 13 */
_ds_load_u16 v[vgprValuB_X2_I0+2], v[vgprLocalReadAddrB] offset:8194 // L -> Reg lro=4096 swapByteOffset=0 ti=128 vIdx=0 rIdx=0 oIdx=0 buffer=2 iui=0
_ds_load_u16 v[vgprValuB_X2_I0+3], v[vgprLocalReadAddrB] offset:9218 // L -> Reg lro=4096 swapByteOffset=0 ti=128 vIdx=0 rIdx=2 oIdx=0 buffer=2 iui=0
	;; [unrolled: 1-line block ×6, first 2 shown]

/* global read inc A loopL */
s_add_u32 s[sgprSrdA+0], s[sgprSrdA+0], s[sgprGlobalReadIncsA+0] // gra SRD += inc(lower)
s_addc_u32  s[sgprSrdA+1], s[sgprSrdA+1], 0        // gra SRD += inc(upper)
s_sub_u32 s[sgprShadowLimitA+0], s[sgprShadowLimitA+0], s[sgprGlobalReadIncsA+0] // limit -= inc)
s_subb_u32 s[sgprShadowLimitA+1], s[sgprShadowLimitA+1], 0 // limit -= inc)
s_cmp_eq_u32 s[sgprShadowLimitA+1], 0              // are we within 2^32?
s_cmov_b32 s[sgprSrdA+2], s[sgprShadowLimitA+0]    // Move shadow to real if we are within 2^32

/* global read inc B loopL */
s_add_u32 s[sgprSrdB+0], s[sgprSrdB+0], s[sgprGlobalReadIncsB+0] // gra SRD += inc(lower)
v_mfma_f32_32x32x8bf16_1k v[112+0:127+0], v[vgprValuB_X0_I0+6+0+0:vgprValuB_X0_I0+6+0+0+1], v[vgprValuA_X0_I0+2+0+0:vgprValuA_X0_I0+2+0+0+1], v[112:127]
/*  mfmaIndex:7  */
/* localReadsVacancy: latencyLeft 13 */
_ds_load_u16 v[vgprValuA_X3_I0+0], v[vgprLocalReadAddrA] offset:6144 // L -> Reg lro=3072 swapByteOffset=0 ti=128 vIdx=0 rIdx=0 oIdx=0 buffer=3 iui=0
_ds_load_u16 v[vgprValuA_X3_I0+1], v[vgprLocalReadAddrA] offset:6656 // L -> Reg lro=3072 swapByteOffset=0 ti=128 vIdx=0 rIdx=2 oIdx=0 buffer=3 iui=0
_ds_load_u16 v[vgprValuB_X3_I0+0], v[vgprLocalReadAddrB] offset:12288 // L -> Reg lro=6144 swapByteOffset=0 ti=128 vIdx=0 rIdx=0 oIdx=0 buffer=3 iui=0
_ds_load_u16 v[vgprValuB_X3_I0+1], v[vgprLocalReadAddrB] offset:13312 // L -> Reg lro=6144 swapByteOffset=0 ti=128 vIdx=0 rIdx=2 oIdx=0 buffer=3 iui=0
_ds_load_u16 v[vgprValuA_X3_I0+2], v[vgprLocalReadAddrA] offset:6146 // L -> Reg lro=3072 swapByteOffset=0 ti=128 vIdx=0 rIdx=0 oIdx=0 buffer=3 iui=0
_ds_load_u16 v[vgprValuA_X3_I0+3], v[vgprLocalReadAddrA] offset:6658 // L -> Reg lro=3072 swapByteOffset=0 ti=128 vIdx=0 rIdx=2 oIdx=0 buffer=3 iui=0
s_addc_u32  s[sgprSrdB+1], s[sgprSrdB+1], 0        // gra SRD += inc(upper)
s_sub_u32 s[sgprShadowLimitB+0], s[sgprShadowLimitB+0], s[sgprGlobalReadIncsB+0] // limit -= inc)
s_subb_u32 s[sgprShadowLimitB+1], s[sgprShadowLimitB+1], 0 // limit -= inc)
s_cmp_eq_u32 s[sgprShadowLimitB+1], 0              // are we within 2^32?
s_cmov_b32 s[sgprSrdB+2], s[sgprShadowLimitB+0]    // Move shadow to real if we are within 2^32
v_mfma_f32_32x32x8bf16_1k v[96+0:111+0], v[vgprValuB_X0_I0+6+0+0:vgprValuB_X0_I0+6+0+0+1], v[vgprValuA_X0_I0+0+0+0:vgprValuA_X0_I0+0+0+0+1], v[96:111]
/* numPrefetchIter=0 */
/* dataAtIterA=-1 numReadsIterA=1 skipReadsIterA=1 readsPerIterA=8 */
/* dataAtIterB=-1 numReadsIterB=1 skipReadsIterB=1 readsPerIterB=16 */


/* iter 1 */

/*  grEndMfmaIndex:5, lwStartMfmaIndex:20, lwEndMfmaIndex:25  */
/*  numMfmaForLR:4, barrierMfmaIndex:27 */
/*  mfmaIndex:8  */
_ds_load_u16_d16_hi v211, v[vgprLocalReadAddrA] offset:4352 // L -> Reg lro=2048 swapByteOffset=0 ti=128 vIdx=0 rIdx=1 oIdx=0 buffer=2 iui=0
_ds_load_u16_d16_hi v212, v[vgprLocalReadAddrA] offset:4864 // L -> Reg lro=2048 swapByteOffset=0 ti=128 vIdx=0 rIdx=3 oIdx=0 buffer=2 iui=0
_ds_load_u16_d16_hi v215, v[vgprLocalReadAddrB] offset:8704 // L -> Reg lro=4096 swapByteOffset=0 ti=128 vIdx=0 rIdx=1 oIdx=0 buffer=2 iui=0
_ds_load_u16_d16_hi v216, v[vgprLocalReadAddrB] offset:9728 // L -> Reg lro=4096 swapByteOffset=0 ti=128 vIdx=0 rIdx=3 oIdx=0 buffer=2 iui=0
_ds_load_u16_d16_hi v213, v[vgprLocalReadAddrA] offset:4354 // L -> Reg lro=2048 swapByteOffset=0 ti=128 vIdx=0 rIdx=1 oIdx=0 buffer=2 iui=0
_ds_load_u16_d16_hi v214, v[vgprLocalReadAddrA] offset:4866 // L -> Reg lro=2048 swapByteOffset=0 ti=128 vIdx=0 rIdx=3 oIdx=0 buffer=2 iui=0
s_waitcnt lgkmcnt(15)                              // lgkmcnt=0 vmcnt=-1wait for prior local read local write old=12, new=18 newLW=0 newLR=6
/* pack scheduling: packAIdx:2, packBIdx:2 */
v_or_b32 v[vgprValuA_X1_I0+0], v[vgprValuA_X1_I0+0], v223 // pack two half Vgpr to one Vgpr
v_or_b32 v[vgprValuA_X1_I0+1], v[vgprValuA_X1_I0+1], v224 // pack two half Vgpr to one Vgpr
v_or_b32 v[vgprValuB_X1_I0+0], v[vgprValuB_X1_I0+0], v227 // pack two half Vgpr to one Vgpr
v_or_b32 v[vgprValuB_X1_I0+1], v[vgprValuB_X1_I0+1], v228 // pack two half Vgpr to one Vgpr
v_or_b32 v[vgprValuA_X1_I0+2], v[vgprValuA_X1_I0+2], v225 // pack two half Vgpr to one Vgpr
v_or_b32 v[vgprValuA_X1_I0+3], v[vgprValuA_X1_I0+3], v226 // pack two half Vgpr to one Vgpr
v_mfma_f32_32x32x8bf16_1k v[0+0:15+0], v[vgprValuB_X1_I0+0+0+0:vgprValuB_X1_I0+0+0+0+1], v[vgprValuA_X1_I0+0+0+0:vgprValuA_X1_I0+0+0+0+1], v[0:15]
/*  mfmaIndex:9  */
_ds_load_u16_d16_hi v217, v[vgprLocalReadAddrB] offset:8706 // L -> Reg lro=4096 swapByteOffset=0 ti=128 vIdx=0 rIdx=1 oIdx=0 buffer=2 iui=0
_ds_load_u16_d16_hi v218, v[vgprLocalReadAddrB] offset:9730 // L -> Reg lro=4096 swapByteOffset=0 ti=128 vIdx=0 rIdx=3 oIdx=0 buffer=2 iui=0
_ds_load_u16_d16_hi v219, v[vgprLocalReadAddrB] offset:8960 // L -> Reg lro=4096 swapByteOffset=0 ti=128 vIdx=1 rIdx=1 oIdx=0 buffer=2 iui=0
_ds_load_u16_d16_hi v220, v[vgprLocalReadAddrB] offset:9984 // L -> Reg lro=4096 swapByteOffset=0 ti=128 vIdx=1 rIdx=3 oIdx=0 buffer=2 iui=0
_ds_load_u16_d16_hi v221, v[vgprLocalReadAddrB] offset:8962 // L -> Reg lro=4096 swapByteOffset=0 ti=128 vIdx=1 rIdx=1 oIdx=0 buffer=2 iui=0
_ds_load_u16_d16_hi v222, v[vgprLocalReadAddrB] offset:9986 // L -> Reg lro=4096 swapByteOffset=0 ti=128 vIdx=1 rIdx=3 oIdx=0 buffer=2 iui=0
/* localReadsVacancy: latencyLeft 1 */
/* pack scheduling: packAIdx:4, packBIdx:2 */
v_or_b32 v[vgprValuB_X1_I0+2], v[vgprValuB_X1_I0+2], v229 // pack two half Vgpr to one Vgpr
v_or_b32 v[vgprValuB_X1_I0+3], v[vgprValuB_X1_I0+3], v230 // pack two half Vgpr to one Vgpr
	;; [unrolled: 1-line block ×4, first 2 shown]
v_mfma_f32_32x32x8bf16_1k v[16+0:31+0], v[vgprValuB_X1_I0+0+0+0:vgprValuB_X1_I0+0+0+0+1], v[vgprValuA_X1_I0+2+0+0:vgprValuA_X1_I0+2+0+0+1], v[16:31]
/*  mfmaIndex:10  */
/* localReadsVacancy: latencyLeft 13 */
_ds_load_u16 v[vgprValuB_X3_I0+2], v[vgprLocalReadAddrB] offset:12290 // L -> Reg lro=6144 swapByteOffset=0 ti=128 vIdx=0 rIdx=0 oIdx=0 buffer=3 iui=0
_ds_load_u16 v[vgprValuB_X3_I0+3], v[vgprLocalReadAddrB] offset:13314 // L -> Reg lro=6144 swapByteOffset=0 ti=128 vIdx=0 rIdx=2 oIdx=0 buffer=3 iui=0
	;; [unrolled: 1-line block ×6, first 2 shown]
/* pack scheduling: packAIdx:4, packBIdx:4 */
v_or_b32 v[vgprValuB_X1_I0+6], v[vgprValuB_X1_I0+6], v233 // pack two half Vgpr to one Vgpr
v_or_b32 v[vgprValuB_X1_I0+7], v[vgprValuB_X1_I0+7], v234 // pack two half Vgpr to one Vgpr
v_mfma_f32_32x32x8bf16_1k v[48+0:63+0], v[vgprValuB_X1_I0+2+0+0:vgprValuB_X1_I0+2+0+0+1], v[vgprValuA_X1_I0+2+0+0:vgprValuA_X1_I0+2+0+0+1], v[48:63]
/*  mfmaIndex:11  */
/* localReadsVacancy: latencyLeft 13 */
v_mfma_f32_32x32x8bf16_1k v[32+0:47+0], v[vgprValuB_X1_I0+2+0+0:vgprValuB_X1_I0+2+0+0+1], v[vgprValuA_X1_I0+0+0+0:vgprValuA_X1_I0+0+0+0+1], v[32:47]
/*  mfmaIndex:12  */
/* localReadsVacancy: latencyLeft 13 */
	;; [unrolled: 3-line block ×5, first 2 shown]
v_mfma_f32_32x32x8bf16_1k v[96+0:111+0], v[vgprValuB_X1_I0+6+0+0:vgprValuB_X1_I0+6+0+0+1], v[vgprValuA_X1_I0+0+0+0:vgprValuA_X1_I0+0+0+0+1], v[96:111]
/* numPrefetchIter=0 */
/* dataAtIterA=0 numReadsIterA=2 skipReadsIterA=1 readsPerIterA=8 */
/* dataAtIterB=0 numReadsIterB=2 skipReadsIterB=1 readsPerIterB=16 */


/* iter 2 (reset local read pointers iteration)  (swap local read pointers iteration)  */

/*  grEndMfmaIndex:5, lwStartMfmaIndex:20, lwEndMfmaIndex:25  */
/*  numMfmaForLR:4, barrierMfmaIndex:27 */
/*  mfmaIndex:16  */
_ds_load_u16_d16_hi v223, v[vgprLocalReadAddrA] offset:6400 // L -> Reg lro=3072 swapByteOffset=0 ti=128 vIdx=0 rIdx=1 oIdx=0 buffer=3 iui=0
_ds_load_u16_d16_hi v224, v[vgprLocalReadAddrA] offset:6912 // L -> Reg lro=3072 swapByteOffset=0 ti=128 vIdx=0 rIdx=3 oIdx=0 buffer=3 iui=0
_ds_load_u16_d16_hi v227, v[vgprLocalReadAddrB] offset:12800 // L -> Reg lro=6144 swapByteOffset=0 ti=128 vIdx=0 rIdx=1 oIdx=0 buffer=3 iui=0
_ds_load_u16_d16_hi v228, v[vgprLocalReadAddrB] offset:13824 // L -> Reg lro=6144 swapByteOffset=0 ti=128 vIdx=0 rIdx=3 oIdx=0 buffer=3 iui=0
_ds_load_u16_d16_hi v225, v[vgprLocalReadAddrA] offset:6402 // L -> Reg lro=3072 swapByteOffset=0 ti=128 vIdx=0 rIdx=1 oIdx=0 buffer=3 iui=0
_ds_load_u16_d16_hi v226, v[vgprLocalReadAddrA] offset:6914 // L -> Reg lro=3072 swapByteOffset=0 ti=128 vIdx=0 rIdx=3 oIdx=0 buffer=3 iui=0
s_waitcnt lgkmcnt(12)                              // lgkmcnt=0 vmcnt=-1wait for prior local read local write old=6, new=12 newLW=0 newLR=6
/* pack scheduling: packAIdx:2, packBIdx:2 */
v_or_b32 v[vgprValuA_X2_I0+0], v[vgprValuA_X2_I0+0], v211 // pack two half Vgpr to one Vgpr
v_or_b32 v[vgprValuA_X2_I0+1], v[vgprValuA_X2_I0+1], v212 // pack two half Vgpr to one Vgpr
v_or_b32 v[vgprValuB_X2_I0+0], v[vgprValuB_X2_I0+0], v215 // pack two half Vgpr to one Vgpr
v_or_b32 v[vgprValuB_X2_I0+1], v[vgprValuB_X2_I0+1], v216 // pack two half Vgpr to one Vgpr
v_or_b32 v[vgprValuA_X2_I0+2], v[vgprValuA_X2_I0+2], v213 // pack two half Vgpr to one Vgpr
v_or_b32 v[vgprValuA_X2_I0+3], v[vgprValuA_X2_I0+3], v214 // pack two half Vgpr to one Vgpr
v_mfma_f32_32x32x8bf16_1k v[0+0:15+0], v[vgprValuB_X2_I0+0+0+0:vgprValuB_X2_I0+0+0+0+1], v[vgprValuA_X2_I0+0+0+0:vgprValuA_X2_I0+0+0+0+1], v[0:15]
/*  mfmaIndex:17  */
_ds_load_u16_d16_hi v229, v[vgprLocalReadAddrB] offset:12802 // L -> Reg lro=6144 swapByteOffset=0 ti=128 vIdx=0 rIdx=1 oIdx=0 buffer=3 iui=0
_ds_load_u16_d16_hi v230, v[vgprLocalReadAddrB] offset:13826 // L -> Reg lro=6144 swapByteOffset=0 ti=128 vIdx=0 rIdx=3 oIdx=0 buffer=3 iui=0
	;; [unrolled: 1-line block ×6, first 2 shown]
/* localReadsVacancy: latencyLeft 1 */
/* pack scheduling: packAIdx:4, packBIdx:2 */
v_or_b32 v[vgprValuB_X2_I0+2], v[vgprValuB_X2_I0+2], v217 // pack two half Vgpr to one Vgpr
v_or_b32 v[vgprValuB_X2_I0+3], v[vgprValuB_X2_I0+3], v218 // pack two half Vgpr to one Vgpr
	;; [unrolled: 1-line block ×4, first 2 shown]
v_mfma_f32_32x32x8bf16_1k v[16+0:31+0], v[vgprValuB_X2_I0+0+0+0:vgprValuB_X2_I0+0+0+0+1], v[vgprValuA_X2_I0+2+0+0:vgprValuA_X2_I0+2+0+0+1], v[16:31]
/*  mfmaIndex:18  */
/* localReadsVacancy: latencyLeft 13 */
/* pack scheduling: packAIdx:4, packBIdx:4 */
v_or_b32 v[vgprValuB_X2_I0+6], v[vgprValuB_X2_I0+6], v221 // pack two half Vgpr to one Vgpr
v_or_b32 v[vgprValuB_X2_I0+7], v[vgprValuB_X2_I0+7], v222 // pack two half Vgpr to one Vgpr
v_mfma_f32_32x32x8bf16_1k v[48+0:63+0], v[vgprValuB_X2_I0+2+0+0:vgprValuB_X2_I0+2+0+0+1], v[vgprValuA_X2_I0+2+0+0:vgprValuA_X2_I0+2+0+0+1], v[48:63]
/*  mfmaIndex:19  */
/* localReadsVacancy: latencyLeft 13 */
/* 1 LDS buffer: read-sync-write */
s_waitcnt lgkmcnt(0)                               // 
s_barrier                                          // 
v_mfma_f32_32x32x8bf16_1k v[32+0:47+0], v[vgprValuB_X2_I0+2+0+0:vgprValuB_X2_I0+2+0+0+1], v[vgprValuA_X2_I0+0+0+0:vgprValuA_X2_I0+0+0+0+1], v[32:47]
/*  mfmaIndex:20  */
/* localReadsVacancy: latencyLeft 3 */
/* sched write - iter 2 writesPerItem=1 */
s_waitcnt vmcnt(0)                                 // lgkmcnt=-1 vmcnt=0wait for global read before writing to local
_ds_store_b128 v[vgprLocalWriteAddrA], v[vgprG2LA+0:vgprG2LA+0+3] offset:0 // lwoA_0_0_0_0 = (0*LSCA) + (0*LSPA)(*MT0I+PAD) = 0
v_mfma_f32_32x32x8bf16_1k v[64+0:79+0], v[vgprValuB_X2_I0+4+0+0:vgprValuB_X2_I0+4+0+0+1], v[vgprValuA_X2_I0+0+0+0:vgprValuA_X2_I0+0+0+0+1], v[64:79]
/*  mfmaIndex:21  */
/* sched write - iter 2 writesPerItem=1 */
s_waitcnt vmcnt(0)                                 // lgkmcnt=-1 vmcnt=0wait for global read before writing to local
_ds_store_b128 v[vgprLocalWriteAddrA], v[vgprG2LA+4:vgprG2LA+4+3] offset:4096 // lwoA_0_0_1_0 = (0*LSCA) + (1*LSPA)(*MT0I+PAD) = 4096
v_mfma_f32_32x32x8bf16_1k v[80+0:95+0], v[vgprValuB_X2_I0+4+0+0:vgprValuB_X2_I0+4+0+0+1], v[vgprValuA_X2_I0+2+0+0:vgprValuA_X2_I0+2+0+0+1], v[80:95]
/*  mfmaIndex:22  */
/* sched write - iter 2 writesPerItem=1 */
s_waitcnt vmcnt(0)                                 // lgkmcnt=-1 vmcnt=0wait for global read before writing to local
_ds_store_b128 v[vgprLocalWriteAddrB], v[vgprG2LB+0:vgprG2LB+0+3] offset:0 // lwoB_0_0_0_0 = (0*LSCB) + (0*LSPB)(*MT1J+PAD) = 0
v_mfma_f32_32x32x8bf16_1k v[112+0:127+0], v[vgprValuB_X2_I0+6+0+0:vgprValuB_X2_I0+6+0+0+1], v[vgprValuA_X2_I0+2+0+0:vgprValuA_X2_I0+2+0+0+1], v[112:127]
/*  mfmaIndex:23  */
/* sched write - iter 2 writesPerItem=1 */
s_waitcnt vmcnt(0)                                 // lgkmcnt=-1 vmcnt=0wait for global read before writing to local
_ds_store_b128 v[vgprLocalWriteAddrB], v[vgprG2LB+4:vgprG2LB+4+3] offset:4096 // lwoB_0_0_1_0 = (0*LSCB) + (1*LSPB)(*MT1J+PAD) = 4096

/* local read swap offsets a */

/* local read swap offsets b */

/* local read init pointers a */

/* localReadInitPointers */

/* local read init pointers b */

/* localReadInitPointers */
v_mfma_f32_32x32x8bf16_1k v[96+0:111+0], v[vgprValuB_X2_I0+6+0+0:vgprValuB_X2_I0+6+0+0+1], v[vgprValuA_X2_I0+0+0+0:vgprValuA_X2_I0+0+0+0+1], v[96:111]
/* numPrefetchIter=0 */
/* dataAtIterA=1 numReadsIterA=3 skipReadsIterA=1 readsPerIterA=8 */
/* dataAtIterB=1 numReadsIterB=3 skipReadsIterB=1 readsPerIterB=16 */


/* iter 3 (swap and reset local write pointers iteration)  */

/*  grEndMfmaIndex:5, lwStartMfmaIndex:20, lwEndMfmaIndex:25  */
/*  numMfmaForLR:4, barrierMfmaIndex:27 */
/*  mfmaIndex:24  */
/* sched write - iter 3 writesPerItem=1 */
s_waitcnt vmcnt(0)                                 // lgkmcnt=-1 vmcnt=0wait for global read before writing to local
_ds_store_b128 v[vgprLocalWriteAddrB], v[vgprG2LB+8:vgprG2LB+8+3] offset:8192 // lwoB_0_0_2_0 = (0*LSCB) + (2*LSPB)(*MT1J+PAD) = 8192
/* pack scheduling: packAIdx:2, packBIdx:2 */
v_or_b32 v[vgprValuA_X3_I0+0], v[vgprValuA_X3_I0+0], v223 // pack two half Vgpr to one Vgpr
v_or_b32 v[vgprValuA_X3_I0+1], v[vgprValuA_X3_I0+1], v224 // pack two half Vgpr to one Vgpr
v_or_b32 v[vgprValuB_X3_I0+0], v[vgprValuB_X3_I0+0], v227 // pack two half Vgpr to one Vgpr
v_or_b32 v[vgprValuB_X3_I0+1], v[vgprValuB_X3_I0+1], v228 // pack two half Vgpr to one Vgpr
v_or_b32 v[vgprValuA_X3_I0+2], v[vgprValuA_X3_I0+2], v225 // pack two half Vgpr to one Vgpr
v_or_b32 v[vgprValuA_X3_I0+3], v[vgprValuA_X3_I0+3], v226 // pack two half Vgpr to one Vgpr
v_mfma_f32_32x32x8bf16_1k v[0+0:15+0], v[vgprValuB_X3_I0+0+0+0:vgprValuB_X3_I0+0+0+0+1], v[vgprValuA_X3_I0+0+0+0:vgprValuA_X3_I0+0+0+0+1], v[0:15]
/*  mfmaIndex:25  */
/* sched write - iter 3 writesPerItem=1 */
s_waitcnt vmcnt(0)                                 // lgkmcnt=-1 vmcnt=0wait for global read before writing to local
_ds_store_b128 v[vgprLocalWriteAddrB], v[vgprG2LB+12:vgprG2LB+12+3] offset:12288 // lwoB_0_0_3_0 = (0*LSCB) + (3*LSPB)(*MT1J+PAD) = 12288

/* local write swap offsets a */

/* local write swap offsets b */
/* pack scheduling: packAIdx:4, packBIdx:2 */
v_or_b32 v[vgprValuB_X3_I0+2], v[vgprValuB_X3_I0+2], v229 // pack two half Vgpr to one Vgpr
v_or_b32 v[vgprValuB_X3_I0+3], v[vgprValuB_X3_I0+3], v230 // pack two half Vgpr to one Vgpr
v_or_b32 v[vgprValuB_X3_I0+4], v[vgprValuB_X3_I0+4], v231 // pack two half Vgpr to one Vgpr
v_or_b32 v[vgprValuB_X3_I0+5], v[vgprValuB_X3_I0+5], v232 // pack two half Vgpr to one Vgpr
v_mfma_f32_32x32x8bf16_1k v[16+0:31+0], v[vgprValuB_X3_I0+0+0+0:vgprValuB_X3_I0+0+0+0+1], v[vgprValuA_X3_I0+2+0+0:vgprValuA_X3_I0+2+0+0+1], v[16:31]
/*  mfmaIndex:26  */
/* pack scheduling: packAIdx:4, packBIdx:4 */
v_or_b32 v[vgprValuB_X3_I0+6], v[vgprValuB_X3_I0+6], v233 // pack two half Vgpr to one Vgpr
v_or_b32 v[vgprValuB_X3_I0+7], v[vgprValuB_X3_I0+7], v234 // pack two half Vgpr to one Vgpr
v_mfma_f32_32x32x8bf16_1k v[48+0:63+0], v[vgprValuB_X3_I0+2+0+0:vgprValuB_X3_I0+2+0+0+1], v[vgprValuA_X3_I0+2+0+0:vgprValuA_X3_I0+2+0+0+1], v[48:63]
/*  mfmaIndex:27  */
s_waitcnt lgkmcnt(0)                               // lgkmcnt=0 vmcnt=-13wait for local write
s_waitcnt lgkmcnt(0) & vmcnt(0)                    // force waitcnt0
s_barrier //
v_mfma_f32_32x32x8bf16_1k v[32+0:47+0], v[vgprValuB_X3_I0+2+0+0:vgprValuB_X3_I0+2+0+0+1], v[vgprValuA_X3_I0+0+0+0:vgprValuA_X3_I0+0+0+0+1], v[32:47]
/*  mfmaIndex:28  */
_ds_load_u16 v[vgprValuA_X0_I0+0], v[vgprLocalReadAddrA] offset:0 // L -> Reg lro=0 swapByteOffset=0 ti=128 vIdx=0 rIdx=0 oIdx=0 buffer=0 iui=0
_ds_load_u16_d16_hi v211, v[vgprLocalReadAddrA] offset:256 // L -> Reg lro=0 swapByteOffset=0 ti=128 vIdx=0 rIdx=1 oIdx=0 buffer=0 iui=0
_ds_load_u16 v[vgprValuA_X0_I0+1], v[vgprLocalReadAddrA] offset:512 // L -> Reg lro=0 swapByteOffset=0 ti=128 vIdx=0 rIdx=2 oIdx=0 buffer=0 iui=0
_ds_load_u16_d16_hi v212, v[vgprLocalReadAddrA] offset:768 // L -> Reg lro=0 swapByteOffset=0 ti=128 vIdx=0 rIdx=3 oIdx=0 buffer=0 iui=0
_ds_load_u16 v[vgprValuB_X0_I0+0], v[vgprLocalReadAddrB] offset:0 // L -> Reg lro=0 swapByteOffset=0 ti=128 vIdx=0 rIdx=0 oIdx=0 buffer=0 iui=0
_ds_load_u16_d16_hi v215, v[vgprLocalReadAddrB] offset:512 // L -> Reg lro=0 swapByteOffset=0 ti=128 vIdx=0 rIdx=1 oIdx=0 buffer=0 iui=0
v_mfma_f32_32x32x8bf16_1k v[64+0:79+0], v[vgprValuB_X3_I0+4+0+0:vgprValuB_X3_I0+4+0+0+1], v[vgprValuA_X3_I0+0+0+0:vgprValuA_X3_I0+0+0+0+1], v[64:79]
/*  mfmaIndex:29  */
_ds_load_u16 v[vgprValuB_X0_I0+1], v[vgprLocalReadAddrB] offset:1024 // L -> Reg lro=0 swapByteOffset=0 ti=128 vIdx=0 rIdx=2 oIdx=0 buffer=0 iui=0
_ds_load_u16_d16_hi v216, v[vgprLocalReadAddrB] offset:1536 // L -> Reg lro=0 swapByteOffset=0 ti=128 vIdx=0 rIdx=3 oIdx=0 buffer=0 iui=0
_ds_load_u16 v[vgprValuA_X0_I0+2], v[vgprLocalReadAddrA] offset:2 // L -> Reg lro=0 swapByteOffset=0 ti=128 vIdx=0 rIdx=0 oIdx=0 buffer=0 iui=0
_ds_load_u16_d16_hi v213, v[vgprLocalReadAddrA] offset:258 // L -> Reg lro=0 swapByteOffset=0 ti=128 vIdx=0 rIdx=1 oIdx=0 buffer=0 iui=0
_ds_load_u16 v[vgprValuA_X0_I0+3], v[vgprLocalReadAddrA] offset:514 // L -> Reg lro=0 swapByteOffset=0 ti=128 vIdx=0 rIdx=2 oIdx=0 buffer=0 iui=0
_ds_load_u16_d16_hi v214, v[vgprLocalReadAddrA] offset:770 // L -> Reg lro=0 swapByteOffset=0 ti=128 vIdx=0 rIdx=3 oIdx=0 buffer=0 iui=0
v_mfma_f32_32x32x8bf16_1k v[80+0:95+0], v[vgprValuB_X3_I0+4+0+0:vgprValuB_X3_I0+4+0+0+1], v[vgprValuA_X3_I0+2+0+0:vgprValuA_X3_I0+2+0+0+1], v[80:95]
/*  mfmaIndex:30  */
_ds_load_u16 v[vgprValuB_X0_I0+2], v[vgprLocalReadAddrB] offset:2 // L -> Reg lro=0 swapByteOffset=0 ti=128 vIdx=0 rIdx=0 oIdx=0 buffer=0 iui=0
_ds_load_u16_d16_hi v217, v[vgprLocalReadAddrB] offset:514 // L -> Reg lro=0 swapByteOffset=0 ti=128 vIdx=0 rIdx=1 oIdx=0 buffer=0 iui=0
_ds_load_u16 v[vgprValuB_X0_I0+3], v[vgprLocalReadAddrB] offset:1026 // L -> Reg lro=0 swapByteOffset=0 ti=128 vIdx=0 rIdx=2 oIdx=0 buffer=0 iui=0
_ds_load_u16_d16_hi v218, v[vgprLocalReadAddrB] offset:1538 // L -> Reg lro=0 swapByteOffset=0 ti=128 vIdx=0 rIdx=3 oIdx=0 buffer=0 iui=0
	;; [unrolled: 2-line block ×3, first 2 shown]
v_mfma_f32_32x32x8bf16_1k v[112+0:127+0], v[vgprValuB_X3_I0+6+0+0:vgprValuB_X3_I0+6+0+0+1], v[vgprValuA_X3_I0+2+0+0:vgprValuA_X3_I0+2+0+0+1], v[112:127]
/*  mfmaIndex:31  */
_ds_load_u16 v[vgprValuB_X0_I0+5], v[vgprLocalReadAddrB] offset:1280 // L -> Reg lro=0 swapByteOffset=0 ti=128 vIdx=1 rIdx=2 oIdx=0 buffer=0 iui=0
_ds_load_u16_d16_hi v220, v[vgprLocalReadAddrB] offset:1792 // L -> Reg lro=0 swapByteOffset=0 ti=128 vIdx=1 rIdx=3 oIdx=0 buffer=0 iui=0
_ds_load_u16 v[vgprValuB_X0_I0+6], v[vgprLocalReadAddrB] offset:258 // L -> Reg lro=0 swapByteOffset=0 ti=128 vIdx=1 rIdx=0 oIdx=0 buffer=0 iui=0
_ds_load_u16_d16_hi v221, v[vgprLocalReadAddrB] offset:770 // L -> Reg lro=0 swapByteOffset=0 ti=128 vIdx=1 rIdx=1 oIdx=0 buffer=0 iui=0
	;; [unrolled: 2-line block ×3, first 2 shown]
v_mfma_f32_32x32x8bf16_1k v[96+0:111+0], v[vgprValuB_X3_I0+6+0+0:vgprValuB_X3_I0+6+0+0+1], v[vgprValuA_X3_I0+0+0+0:vgprValuA_X3_I0+0+0+0+1], v[96:111]


/******************************************/
/* Unrolled Loop - End 2/2 (final)        */
/******************************************/


/* closeLoop loopL finalLoop=1 tailLoop=0 */
s_sub_u32 s[sgprLoopCounterL], s[sgprLoopCounterL], 1 // dec counterL
s_cmp_eq_i32 s[sgprLoopCounterL], 0x1              // counterL==1
s_cbranch_scc0 LoopBeginL_1                        // restart LoopL
LoopEndL_evenexit_4: // unroll loop eveniter exit
s_branch LoopEndL_2                                // exit unroll loopL (and skip second exit code)
LoopEndL_oddexit_3: // unroll loop odditer exit

/* Select high bank of LDS */
LoopEndL_2:


/* Before NLL: Check VGPR.checkin for INT8 LW */


/******************************************/
/* Opt. NoLoadLoop Without PAP - Begin                                      */
/******************************************/

s_cmpk_eq_u32 s[sgprBeta], 0x0                     // Beta == 0
s_cbranch_scc0 OptNLL_End_15                       // Branch if Beta is not zero

s_cmp_eq_u32 s[sgprAlpha], 1.0                     // Alpha == 1.0 ?
s_cbranch_scc0 OptNLL_End_15                       // branch if alpha != 1

s_and_b32 s32, 127, s[sgprSizeI]                   // s32 = s[sgprSizeI] % 128
s_add_u32 s33, -0x1, s[sgprNumWorkGroups0]         // 
s_cmp_ge_u32 s[sgprWorkGroup0], s33                // wg0 >= nwg0-1 ?
s_cselect_b32 s32, s32, 0                          // set rMT0
s_cmpk_gt_u32 s32, 0x0                             // rMT0 > 0
s_cbranch_scc1 OptNLL_End_15                       // jump if edges required
s_and_b32 s32, 255, s[sgprSizeJ]                   // s32 = s[sgprSizeJ] % 256
s_add_u32 s33, -0x1, s[sgprNumWorkGroups1]         // 
s_cmp_ge_u32 s[sgprWorkGroup1], s33                // wg1 >= nwg1-1
s_cselect_b32 s32, s32, 0                          // set rMT1
s_cmpk_gt_u32 s32, 0x0                             // rMT1 > 0
s_cbranch_scc1 OptNLL_End_15                       // jump if edges required

s_and_b32 s33, 31, s[sgprSizesSum+0]               // s33 = s[sgprSizesSum+0] % 32
s_cmp_eq_u32 s33, 0x0                              // numIterL == 0
s_cbranch_scc0 OptNLL_End_15                       // skip if tail loop required



/* iter 0 (last unrolled loop) */

/*  grEndMfmaIndex:0, lwStartMfmaIndex:25, lwEndMfmaIndex:25  */
/*  numMfmaForLR:4, barrierMfmaIndex:27 */
/*  mfmaIndex:0  */
s_waitcnt lgkmcnt(0)                               // lgkmcnt=0 vmcnt=-1wait for prior local read local write old=0, new=0 newLW=0 newLR=0
/* pack scheduling: packAIdx:2, packBIdx:2 */
v_or_b32 v[vgprValuA_X0_I0+0], v[vgprValuA_X0_I0+0], v211 // pack two half Vgpr to one Vgpr
v_or_b32 v[vgprValuA_X0_I0+1], v[vgprValuA_X0_I0+1], v212 // pack two half Vgpr to one Vgpr
v_or_b32 v[vgprValuB_X0_I0+0], v[vgprValuB_X0_I0+0], v215 // pack two half Vgpr to one Vgpr
v_or_b32 v[vgprValuB_X0_I0+1], v[vgprValuB_X0_I0+1], v216 // pack two half Vgpr to one Vgpr
v_or_b32 v[vgprValuA_X0_I0+2], v[vgprValuA_X0_I0+2], v213 // pack two half Vgpr to one Vgpr
v_or_b32 v[vgprValuA_X0_I0+3], v[vgprValuA_X0_I0+3], v214 // pack two half Vgpr to one Vgpr
v_mfma_f32_32x32x8bf16_1k v[0+0:15+0], v[vgprValuB_X0_I0+0+0+0:vgprValuB_X0_I0+0+0+0+1], v[vgprValuA_X0_I0+0+0+0:vgprValuA_X0_I0+0+0+0+1], v[0:15]
/*  mfmaIndex:1  */
_ds_load_u16 v[vgprValuA_X1_I0+0], v[vgprLocalReadAddrA] offset:2048 // L -> Reg lro=1024 swapByteOffset=0 ti=128 vIdx=0 rIdx=0 oIdx=0 buffer=1 iui=0
_ds_load_u16_d16_hi v223, v[vgprLocalReadAddrA] offset:2304 // L -> Reg lro=1024 swapByteOffset=0 ti=128 vIdx=0 rIdx=1 oIdx=0 buffer=1 iui=0
_ds_load_u16 v[vgprValuA_X1_I0+1], v[vgprLocalReadAddrA] offset:2560 // L -> Reg lro=1024 swapByteOffset=0 ti=128 vIdx=0 rIdx=2 oIdx=0 buffer=1 iui=0
_ds_load_u16_d16_hi v224, v[vgprLocalReadAddrA] offset:2816 // L -> Reg lro=1024 swapByteOffset=0 ti=128 vIdx=0 rIdx=3 oIdx=0 buffer=1 iui=0
_ds_load_u16 v[vgprValuB_X1_I0+0], v[vgprLocalReadAddrB] offset:4096 // L -> Reg lro=2048 swapByteOffset=0 ti=128 vIdx=0 rIdx=0 oIdx=0 buffer=1 iui=0
_ds_load_u16_d16_hi v227, v[vgprLocalReadAddrB] offset:4608 // L -> Reg lro=2048 swapByteOffset=0 ti=128 vIdx=0 rIdx=1 oIdx=0 buffer=1 iui=0
/* pack scheduling: packAIdx:4, packBIdx:2 */
v_or_b32 v[vgprValuB_X0_I0+2], v[vgprValuB_X0_I0+2], v217 // pack two half Vgpr to one Vgpr
v_or_b32 v[vgprValuB_X0_I0+3], v[vgprValuB_X0_I0+3], v218 // pack two half Vgpr to one Vgpr
	;; [unrolled: 1-line block ×4, first 2 shown]
v_mfma_f32_32x32x8bf16_1k v[16+0:31+0], v[vgprValuB_X0_I0+0+0+0:vgprValuB_X0_I0+0+0+0+1], v[vgprValuA_X0_I0+2+0+0:vgprValuA_X0_I0+2+0+0+1], v[16:31]
/*  mfmaIndex:2  */
_ds_load_u16 v[vgprValuB_X1_I0+1], v[vgprLocalReadAddrB] offset:5120 // L -> Reg lro=2048 swapByteOffset=0 ti=128 vIdx=0 rIdx=2 oIdx=0 buffer=1 iui=0
_ds_load_u16_d16_hi v228, v[vgprLocalReadAddrB] offset:5632 // L -> Reg lro=2048 swapByteOffset=0 ti=128 vIdx=0 rIdx=3 oIdx=0 buffer=1 iui=0
_ds_load_u16 v[vgprValuA_X1_I0+2], v[vgprLocalReadAddrA] offset:2050 // L -> Reg lro=1024 swapByteOffset=0 ti=128 vIdx=0 rIdx=0 oIdx=0 buffer=1 iui=0
_ds_load_u16_d16_hi v225, v[vgprLocalReadAddrA] offset:2306 // L -> Reg lro=1024 swapByteOffset=0 ti=128 vIdx=0 rIdx=1 oIdx=0 buffer=1 iui=0
_ds_load_u16 v[vgprValuA_X1_I0+3], v[vgprLocalReadAddrA] offset:2562 // L -> Reg lro=1024 swapByteOffset=0 ti=128 vIdx=0 rIdx=2 oIdx=0 buffer=1 iui=0
_ds_load_u16_d16_hi v226, v[vgprLocalReadAddrA] offset:2818 // L -> Reg lro=1024 swapByteOffset=0 ti=128 vIdx=0 rIdx=3 oIdx=0 buffer=1 iui=0
/* pack scheduling: packAIdx:4, packBIdx:4 */
v_or_b32 v[vgprValuB_X0_I0+6], v[vgprValuB_X0_I0+6], v221 // pack two half Vgpr to one Vgpr
v_or_b32 v[vgprValuB_X0_I0+7], v[vgprValuB_X0_I0+7], v222 // pack two half Vgpr to one Vgpr
v_mfma_f32_32x32x8bf16_1k v[48+0:63+0], v[vgprValuB_X0_I0+2+0+0:vgprValuB_X0_I0+2+0+0+1], v[vgprValuA_X0_I0+2+0+0:vgprValuA_X0_I0+2+0+0+1], v[48:63]
/*  mfmaIndex:3  */
_ds_load_u16 v[vgprValuB_X1_I0+2], v[vgprLocalReadAddrB] offset:4098 // L -> Reg lro=2048 swapByteOffset=0 ti=128 vIdx=0 rIdx=0 oIdx=0 buffer=1 iui=0
_ds_load_u16_d16_hi v229, v[vgprLocalReadAddrB] offset:4610 // L -> Reg lro=2048 swapByteOffset=0 ti=128 vIdx=0 rIdx=1 oIdx=0 buffer=1 iui=0
_ds_load_u16 v[vgprValuB_X1_I0+3], v[vgprLocalReadAddrB] offset:5122 // L -> Reg lro=2048 swapByteOffset=0 ti=128 vIdx=0 rIdx=2 oIdx=0 buffer=1 iui=0
_ds_load_u16_d16_hi v230, v[vgprLocalReadAddrB] offset:5634 // L -> Reg lro=2048 swapByteOffset=0 ti=128 vIdx=0 rIdx=3 oIdx=0 buffer=1 iui=0
	;; [unrolled: 2-line block ×3, first 2 shown]
v_mfma_f32_32x32x8bf16_1k v[32+0:47+0], v[vgprValuB_X0_I0+2+0+0:vgprValuB_X0_I0+2+0+0+1], v[vgprValuA_X0_I0+0+0+0:vgprValuA_X0_I0+0+0+0+1], v[32:47]
/*  mfmaIndex:4  */
_ds_load_u16 v[vgprValuB_X1_I0+5], v[vgprLocalReadAddrB] offset:5376 // L -> Reg lro=2048 swapByteOffset=0 ti=128 vIdx=1 rIdx=2 oIdx=0 buffer=1 iui=0
_ds_load_u16_d16_hi v232, v[vgprLocalReadAddrB] offset:5888 // L -> Reg lro=2048 swapByteOffset=0 ti=128 vIdx=1 rIdx=3 oIdx=0 buffer=1 iui=0
_ds_load_u16 v[vgprValuB_X1_I0+6], v[vgprLocalReadAddrB] offset:4354 // L -> Reg lro=2048 swapByteOffset=0 ti=128 vIdx=1 rIdx=0 oIdx=0 buffer=1 iui=0
_ds_load_u16_d16_hi v233, v[vgprLocalReadAddrB] offset:4866 // L -> Reg lro=2048 swapByteOffset=0 ti=128 vIdx=1 rIdx=1 oIdx=0 buffer=1 iui=0
	;; [unrolled: 2-line block ×3, first 2 shown]
/* localReadsVacancy: latencyLeft 1 */
v_mfma_f32_32x32x8bf16_1k v[64+0:79+0], v[vgprValuB_X0_I0+4+0+0:vgprValuB_X0_I0+4+0+0+1], v[vgprValuA_X0_I0+0+0+0:vgprValuA_X0_I0+0+0+0+1], v[64:79]
/*  mfmaIndex:5  */
/* localReadsVacancy: latencyLeft 13 */
_ds_load_u16 v[vgprValuA_X2_I0+0], v[vgprLocalReadAddrA] offset:4096 // L -> Reg lro=2048 swapByteOffset=0 ti=128 vIdx=0 rIdx=0 oIdx=0 buffer=2 iui=0
_ds_load_u16 v[vgprValuA_X2_I0+1], v[vgprLocalReadAddrA] offset:4608 // L -> Reg lro=2048 swapByteOffset=0 ti=128 vIdx=0 rIdx=2 oIdx=0 buffer=2 iui=0
_ds_load_u16 v[vgprValuB_X2_I0+0], v[vgprLocalReadAddrB] offset:8192 // L -> Reg lro=4096 swapByteOffset=0 ti=128 vIdx=0 rIdx=0 oIdx=0 buffer=2 iui=0
_ds_load_u16 v[vgprValuB_X2_I0+1], v[vgprLocalReadAddrB] offset:9216 // L -> Reg lro=4096 swapByteOffset=0 ti=128 vIdx=0 rIdx=2 oIdx=0 buffer=2 iui=0
_ds_load_u16 v[vgprValuA_X2_I0+2], v[vgprLocalReadAddrA] offset:4098 // L -> Reg lro=2048 swapByteOffset=0 ti=128 vIdx=0 rIdx=0 oIdx=0 buffer=2 iui=0
_ds_load_u16 v[vgprValuA_X2_I0+3], v[vgprLocalReadAddrA] offset:4610 // L -> Reg lro=2048 swapByteOffset=0 ti=128 vIdx=0 rIdx=2 oIdx=0 buffer=2 iui=0
v_mfma_f32_32x32x8bf16_1k v[80+0:95+0], v[vgprValuB_X0_I0+4+0+0:vgprValuB_X0_I0+4+0+0+1], v[vgprValuA_X0_I0+2+0+0:vgprValuA_X0_I0+2+0+0+1], v[80:95]
/*  mfmaIndex:6  */
/* localReadsVacancy: latencyLeft 13 */
_ds_load_u16 v[vgprValuB_X2_I0+2], v[vgprLocalReadAddrB] offset:8194 // L -> Reg lro=4096 swapByteOffset=0 ti=128 vIdx=0 rIdx=0 oIdx=0 buffer=2 iui=0
_ds_load_u16 v[vgprValuB_X2_I0+3], v[vgprLocalReadAddrB] offset:9218 // L -> Reg lro=4096 swapByteOffset=0 ti=128 vIdx=0 rIdx=2 oIdx=0 buffer=2 iui=0
	;; [unrolled: 1-line block ×6, first 2 shown]
v_mfma_f32_32x32x8bf16_1k v[112+0:127+0], v[vgprValuB_X0_I0+6+0+0:vgprValuB_X0_I0+6+0+0+1], v[vgprValuA_X0_I0+2+0+0:vgprValuA_X0_I0+2+0+0+1], v[112:127]
/*  mfmaIndex:7  */
/* localReadsVacancy: latencyLeft 13 */
_ds_load_u16 v[vgprValuA_X3_I0+0], v[vgprLocalReadAddrA] offset:6144 // L -> Reg lro=3072 swapByteOffset=0 ti=128 vIdx=0 rIdx=0 oIdx=0 buffer=3 iui=0
_ds_load_u16 v[vgprValuA_X3_I0+1], v[vgprLocalReadAddrA] offset:6656 // L -> Reg lro=3072 swapByteOffset=0 ti=128 vIdx=0 rIdx=2 oIdx=0 buffer=3 iui=0
_ds_load_u16 v[vgprValuB_X3_I0+0], v[vgprLocalReadAddrB] offset:12288 // L -> Reg lro=6144 swapByteOffset=0 ti=128 vIdx=0 rIdx=0 oIdx=0 buffer=3 iui=0
_ds_load_u16 v[vgprValuB_X3_I0+1], v[vgprLocalReadAddrB] offset:13312 // L -> Reg lro=6144 swapByteOffset=0 ti=128 vIdx=0 rIdx=2 oIdx=0 buffer=3 iui=0
_ds_load_u16 v[vgprValuA_X3_I0+2], v[vgprLocalReadAddrA] offset:6146 // L -> Reg lro=3072 swapByteOffset=0 ti=128 vIdx=0 rIdx=0 oIdx=0 buffer=3 iui=0
_ds_load_u16 v[vgprValuA_X3_I0+3], v[vgprLocalReadAddrA] offset:6658 // L -> Reg lro=3072 swapByteOffset=0 ti=128 vIdx=0 rIdx=2 oIdx=0 buffer=3 iui=0
v_mfma_f32_32x32x8bf16_1k v[96+0:111+0], v[vgprValuB_X0_I0+6+0+0:vgprValuB_X0_I0+6+0+0+1], v[vgprValuA_X0_I0+0+0+0:vgprValuA_X0_I0+0+0+0+1], v[96:111]
/* numPrefetchIter=0 */
/* dataAtIterA=-1 numReadsIterA=1 skipReadsIterA=1 readsPerIterA=8 */
/* dataAtIterB=-1 numReadsIterB=1 skipReadsIterB=1 readsPerIterB=16 */


/* iter 1 (last unrolled loop) */

/*  grEndMfmaIndex:0, lwStartMfmaIndex:25, lwEndMfmaIndex:25  */
/*  numMfmaForLR:4, barrierMfmaIndex:27 */
/*  mfmaIndex:8  */
_ds_load_u16_d16_hi v211, v[vgprLocalReadAddrA] offset:4352 // L -> Reg lro=2048 swapByteOffset=0 ti=128 vIdx=0 rIdx=1 oIdx=0 buffer=2 iui=0
_ds_load_u16_d16_hi v212, v[vgprLocalReadAddrA] offset:4864 // L -> Reg lro=2048 swapByteOffset=0 ti=128 vIdx=0 rIdx=3 oIdx=0 buffer=2 iui=0
_ds_load_u16_d16_hi v215, v[vgprLocalReadAddrB] offset:8704 // L -> Reg lro=4096 swapByteOffset=0 ti=128 vIdx=0 rIdx=1 oIdx=0 buffer=2 iui=0
_ds_load_u16_d16_hi v216, v[vgprLocalReadAddrB] offset:9728 // L -> Reg lro=4096 swapByteOffset=0 ti=128 vIdx=0 rIdx=3 oIdx=0 buffer=2 iui=0
_ds_load_u16_d16_hi v213, v[vgprLocalReadAddrA] offset:4354 // L -> Reg lro=2048 swapByteOffset=0 ti=128 vIdx=0 rIdx=1 oIdx=0 buffer=2 iui=0
_ds_load_u16_d16_hi v214, v[vgprLocalReadAddrA] offset:4866 // L -> Reg lro=2048 swapByteOffset=0 ti=128 vIdx=0 rIdx=3 oIdx=0 buffer=2 iui=0
s_waitcnt lgkmcnt(15)                              // lgkmcnt=0 vmcnt=-1wait for prior local read local write old=12, new=18 newLW=0 newLR=6
/* pack scheduling: packAIdx:2, packBIdx:2 */
v_or_b32 v[vgprValuA_X1_I0+0], v[vgprValuA_X1_I0+0], v223 // pack two half Vgpr to one Vgpr
v_or_b32 v[vgprValuA_X1_I0+1], v[vgprValuA_X1_I0+1], v224 // pack two half Vgpr to one Vgpr
v_or_b32 v[vgprValuB_X1_I0+0], v[vgprValuB_X1_I0+0], v227 // pack two half Vgpr to one Vgpr
v_or_b32 v[vgprValuB_X1_I0+1], v[vgprValuB_X1_I0+1], v228 // pack two half Vgpr to one Vgpr
v_or_b32 v[vgprValuA_X1_I0+2], v[vgprValuA_X1_I0+2], v225 // pack two half Vgpr to one Vgpr
v_or_b32 v[vgprValuA_X1_I0+3], v[vgprValuA_X1_I0+3], v226 // pack two half Vgpr to one Vgpr
v_mfma_f32_32x32x8bf16_1k v[0+0:15+0], v[vgprValuB_X1_I0+0+0+0:vgprValuB_X1_I0+0+0+0+1], v[vgprValuA_X1_I0+0+0+0:vgprValuA_X1_I0+0+0+0+1], v[0:15]
/*  mfmaIndex:9  */
_ds_load_u16_d16_hi v217, v[vgprLocalReadAddrB] offset:8706 // L -> Reg lro=4096 swapByteOffset=0 ti=128 vIdx=0 rIdx=1 oIdx=0 buffer=2 iui=0
_ds_load_u16_d16_hi v218, v[vgprLocalReadAddrB] offset:9730 // L -> Reg lro=4096 swapByteOffset=0 ti=128 vIdx=0 rIdx=3 oIdx=0 buffer=2 iui=0
	;; [unrolled: 1-line block ×6, first 2 shown]
/* localReadsVacancy: latencyLeft 1 */
/* pack scheduling: packAIdx:4, packBIdx:2 */
v_or_b32 v[vgprValuB_X1_I0+2], v[vgprValuB_X1_I0+2], v229 // pack two half Vgpr to one Vgpr
v_or_b32 v[vgprValuB_X1_I0+3], v[vgprValuB_X1_I0+3], v230 // pack two half Vgpr to one Vgpr
	;; [unrolled: 1-line block ×4, first 2 shown]
v_mfma_f32_32x32x8bf16_1k v[16+0:31+0], v[vgprValuB_X1_I0+0+0+0:vgprValuB_X1_I0+0+0+0+1], v[vgprValuA_X1_I0+2+0+0:vgprValuA_X1_I0+2+0+0+1], v[16:31]
/*  mfmaIndex:10  */
/* localReadsVacancy: latencyLeft 13 */
_ds_load_u16 v[vgprValuB_X3_I0+2], v[vgprLocalReadAddrB] offset:12290 // L -> Reg lro=6144 swapByteOffset=0 ti=128 vIdx=0 rIdx=0 oIdx=0 buffer=3 iui=0
_ds_load_u16 v[vgprValuB_X3_I0+3], v[vgprLocalReadAddrB] offset:13314 // L -> Reg lro=6144 swapByteOffset=0 ti=128 vIdx=0 rIdx=2 oIdx=0 buffer=3 iui=0
	;; [unrolled: 1-line block ×6, first 2 shown]
/* pack scheduling: packAIdx:4, packBIdx:4 */
v_or_b32 v[vgprValuB_X1_I0+6], v[vgprValuB_X1_I0+6], v233 // pack two half Vgpr to one Vgpr
v_or_b32 v[vgprValuB_X1_I0+7], v[vgprValuB_X1_I0+7], v234 // pack two half Vgpr to one Vgpr
v_mfma_f32_32x32x8bf16_1k v[48+0:63+0], v[vgprValuB_X1_I0+2+0+0:vgprValuB_X1_I0+2+0+0+1], v[vgprValuA_X1_I0+2+0+0:vgprValuA_X1_I0+2+0+0+1], v[48:63]
/*  mfmaIndex:11  */
/* localReadsVacancy: latencyLeft 13 */
v_mfma_f32_32x32x8bf16_1k v[32+0:47+0], v[vgprValuB_X1_I0+2+0+0:vgprValuB_X1_I0+2+0+0+1], v[vgprValuA_X1_I0+0+0+0:vgprValuA_X1_I0+0+0+0+1], v[32:47]
/*  mfmaIndex:12  */
/* localReadsVacancy: latencyLeft 13 */
v_mfma_f32_32x32x8bf16_1k v[64+0:79+0], v[vgprValuB_X1_I0+4+0+0:vgprValuB_X1_I0+4+0+0+1], v[vgprValuA_X1_I0+0+0+0:vgprValuA_X1_I0+0+0+0+1], v[64:79]
/*  mfmaIndex:13  */
/* localReadsVacancy: latencyLeft 13 */
v_mfma_f32_32x32x8bf16_1k v[80+0:95+0], v[vgprValuB_X1_I0+4+0+0:vgprValuB_X1_I0+4+0+0+1], v[vgprValuA_X1_I0+2+0+0:vgprValuA_X1_I0+2+0+0+1], v[80:95]
/*  mfmaIndex:14  */
/* localReadsVacancy: latencyLeft 13 */
v_mfma_f32_32x32x8bf16_1k v[112+0:127+0], v[vgprValuB_X1_I0+6+0+0:vgprValuB_X1_I0+6+0+0+1], v[vgprValuA_X1_I0+2+0+0:vgprValuA_X1_I0+2+0+0+1], v[112:127]
/*  mfmaIndex:15  */
/* localReadsVacancy: latencyLeft 13 */
v_mfma_f32_32x32x8bf16_1k v[96+0:111+0], v[vgprValuB_X1_I0+6+0+0:vgprValuB_X1_I0+6+0+0+1], v[vgprValuA_X1_I0+0+0+0:vgprValuA_X1_I0+0+0+0+1], v[96:111]
/* numPrefetchIter=0 */
/* dataAtIterA=0 numReadsIterA=2 skipReadsIterA=1 readsPerIterA=8 */
/* dataAtIterB=0 numReadsIterB=2 skipReadsIterB=1 readsPerIterB=16 */


/* iter 2 (last unrolled loop) */

/*  grEndMfmaIndex:0, lwStartMfmaIndex:25, lwEndMfmaIndex:25  */
/*  numMfmaForLR:4, barrierMfmaIndex:27 */
/*  mfmaIndex:16  */
_ds_load_u16_d16_hi v223, v[vgprLocalReadAddrA] offset:6400 // L -> Reg lro=3072 swapByteOffset=0 ti=128 vIdx=0 rIdx=1 oIdx=0 buffer=3 iui=0
_ds_load_u16_d16_hi v224, v[vgprLocalReadAddrA] offset:6912 // L -> Reg lro=3072 swapByteOffset=0 ti=128 vIdx=0 rIdx=3 oIdx=0 buffer=3 iui=0
_ds_load_u16_d16_hi v227, v[vgprLocalReadAddrB] offset:12800 // L -> Reg lro=6144 swapByteOffset=0 ti=128 vIdx=0 rIdx=1 oIdx=0 buffer=3 iui=0
_ds_load_u16_d16_hi v228, v[vgprLocalReadAddrB] offset:13824 // L -> Reg lro=6144 swapByteOffset=0 ti=128 vIdx=0 rIdx=3 oIdx=0 buffer=3 iui=0
_ds_load_u16_d16_hi v225, v[vgprLocalReadAddrA] offset:6402 // L -> Reg lro=3072 swapByteOffset=0 ti=128 vIdx=0 rIdx=1 oIdx=0 buffer=3 iui=0
_ds_load_u16_d16_hi v226, v[vgprLocalReadAddrA] offset:6914 // L -> Reg lro=3072 swapByteOffset=0 ti=128 vIdx=0 rIdx=3 oIdx=0 buffer=3 iui=0
s_waitcnt lgkmcnt(12)                              // lgkmcnt=0 vmcnt=-1wait for prior local read local write old=6, new=12 newLW=0 newLR=6
/* pack scheduling: packAIdx:2, packBIdx:2 */
v_or_b32 v[vgprValuA_X2_I0+0], v[vgprValuA_X2_I0+0], v211 // pack two half Vgpr to one Vgpr
v_or_b32 v[vgprValuA_X2_I0+1], v[vgprValuA_X2_I0+1], v212 // pack two half Vgpr to one Vgpr
v_or_b32 v[vgprValuB_X2_I0+0], v[vgprValuB_X2_I0+0], v215 // pack two half Vgpr to one Vgpr
v_or_b32 v[vgprValuB_X2_I0+1], v[vgprValuB_X2_I0+1], v216 // pack two half Vgpr to one Vgpr
v_or_b32 v[vgprValuA_X2_I0+2], v[vgprValuA_X2_I0+2], v213 // pack two half Vgpr to one Vgpr
v_or_b32 v[vgprValuA_X2_I0+3], v[vgprValuA_X2_I0+3], v214 // pack two half Vgpr to one Vgpr
v_mfma_f32_32x32x8bf16_1k v[0+0:15+0], v[vgprValuB_X2_I0+0+0+0:vgprValuB_X2_I0+0+0+0+1], v[vgprValuA_X2_I0+0+0+0:vgprValuA_X2_I0+0+0+0+1], v[0:15]
/*  mfmaIndex:17  */
_ds_load_u16_d16_hi v229, v[vgprLocalReadAddrB] offset:12802 // L -> Reg lro=6144 swapByteOffset=0 ti=128 vIdx=0 rIdx=1 oIdx=0 buffer=3 iui=0
_ds_load_u16_d16_hi v230, v[vgprLocalReadAddrB] offset:13826 // L -> Reg lro=6144 swapByteOffset=0 ti=128 vIdx=0 rIdx=3 oIdx=0 buffer=3 iui=0
	;; [unrolled: 1-line block ×6, first 2 shown]
/* localReadsVacancy: latencyLeft 1 */
/* pack scheduling: packAIdx:4, packBIdx:2 */
v_or_b32 v[vgprValuB_X2_I0+2], v[vgprValuB_X2_I0+2], v217 // pack two half Vgpr to one Vgpr
v_or_b32 v[vgprValuB_X2_I0+3], v[vgprValuB_X2_I0+3], v218 // pack two half Vgpr to one Vgpr
v_or_b32 v[vgprValuB_X2_I0+4], v[vgprValuB_X2_I0+4], v219 // pack two half Vgpr to one Vgpr
v_or_b32 v[vgprValuB_X2_I0+5], v[vgprValuB_X2_I0+5], v220 // pack two half Vgpr to one Vgpr
v_mfma_f32_32x32x8bf16_1k v[16+0:31+0], v[vgprValuB_X2_I0+0+0+0:vgprValuB_X2_I0+0+0+0+1], v[vgprValuA_X2_I0+2+0+0:vgprValuA_X2_I0+2+0+0+1], v[16:31]
/*  mfmaIndex:18  */
/* localReadsVacancy: latencyLeft 13 */
/* pack scheduling: packAIdx:4, packBIdx:4 */
v_or_b32 v[vgprValuB_X2_I0+6], v[vgprValuB_X2_I0+6], v221 // pack two half Vgpr to one Vgpr
v_or_b32 v[vgprValuB_X2_I0+7], v[vgprValuB_X2_I0+7], v222 // pack two half Vgpr to one Vgpr
v_mfma_f32_32x32x8bf16_1k v[48+0:63+0], v[vgprValuB_X2_I0+2+0+0:vgprValuB_X2_I0+2+0+0+1], v[vgprValuA_X2_I0+2+0+0:vgprValuA_X2_I0+2+0+0+1], v[48:63]
/*  mfmaIndex:19  */
/* localReadsVacancy: latencyLeft 13 */
v_mfma_f32_32x32x8bf16_1k v[32+0:47+0], v[vgprValuB_X2_I0+2+0+0:vgprValuB_X2_I0+2+0+0+1], v[vgprValuA_X2_I0+0+0+0:vgprValuA_X2_I0+0+0+0+1], v[32:47]
/*  mfmaIndex:20  */
/* localReadsVacancy: latencyLeft 13 */
	;; [unrolled: 3-line block ×5, first 2 shown]
v_mfma_f32_32x32x8bf16_1k v[96+0:111+0], v[vgprValuB_X2_I0+6+0+0:vgprValuB_X2_I0+6+0+0+1], v[vgprValuA_X2_I0+0+0+0:vgprValuA_X2_I0+0+0+0+1], v[96:111]
/* numPrefetchIter=0 */
/* dataAtIterA=1 numReadsIterA=3 skipReadsIterA=1 readsPerIterA=8 */
/* dataAtIterB=1 numReadsIterB=3 skipReadsIterB=1 readsPerIterB=16 */


/* iter 3 (last unrolled loop) */

/*  grEndMfmaIndex:0, lwStartMfmaIndex:25, lwEndMfmaIndex:25  */
/*  numMfmaForLR:4, barrierMfmaIndex:27 */
/*  mfmaIndex:24  */
/* 1 LDS buffer: read-sync-write */
s_waitcnt lgkmcnt(0)                               // 
s_barrier                                          // 
s_waitcnt lgkmcnt(0)                               // lgkmcnt=0 vmcnt=-1wait for prior local read local write old=0, new=0 newLW=0 newLR=0
/* pack scheduling: packAIdx:2, packBIdx:2 */
v_or_b32 v[vgprValuA_X3_I0+0], v[vgprValuA_X3_I0+0], v223 // pack two half Vgpr to one Vgpr
v_or_b32 v[vgprValuA_X3_I0+1], v[vgprValuA_X3_I0+1], v224 // pack two half Vgpr to one Vgpr
v_or_b32 v[vgprValuB_X3_I0+0], v[vgprValuB_X3_I0+0], v227 // pack two half Vgpr to one Vgpr
v_or_b32 v[vgprValuB_X3_I0+1], v[vgprValuB_X3_I0+1], v228 // pack two half Vgpr to one Vgpr
v_or_b32 v[vgprValuA_X3_I0+2], v[vgprValuA_X3_I0+2], v225 // pack two half Vgpr to one Vgpr
v_or_b32 v[vgprValuA_X3_I0+3], v[vgprValuA_X3_I0+3], v226 // pack two half Vgpr to one Vgpr
v_mfma_f32_32x32x8bf16_1k v[0+0:15+0], v[vgprValuB_X3_I0+0+0+0:vgprValuB_X3_I0+0+0+0+1], v[vgprValuA_X3_I0+0+0+0:vgprValuA_X3_I0+0+0+0+1], v[0:15]
/*  mfmaIndex:25  */
/* pack scheduling: packAIdx:4, packBIdx:2 */
v_or_b32 v[vgprValuB_X3_I0+2], v[vgprValuB_X3_I0+2], v229 // pack two half Vgpr to one Vgpr
v_or_b32 v[vgprValuB_X3_I0+3], v[vgprValuB_X3_I0+3], v230 // pack two half Vgpr to one Vgpr
	;; [unrolled: 1-line block ×4, first 2 shown]
v_mfma_f32_32x32x8bf16_1k v[16+0:31+0], v[vgprValuB_X3_I0+0+0+0:vgprValuB_X3_I0+0+0+0+1], v[vgprValuA_X3_I0+2+0+0:vgprValuA_X3_I0+2+0+0+1], v[16:31]
/*  mfmaIndex:26  */
/* pack scheduling: packAIdx:4, packBIdx:4 */
v_or_b32 v[vgprValuB_X3_I0+6], v[vgprValuB_X3_I0+6], v233 // pack two half Vgpr to one Vgpr
v_or_b32 v[vgprValuB_X3_I0+7], v[vgprValuB_X3_I0+7], v234 // pack two half Vgpr to one Vgpr
v_mfma_f32_32x32x8bf16_1k v[48+0:63+0], v[vgprValuB_X3_I0+2+0+0:vgprValuB_X3_I0+2+0+0+1], v[vgprValuA_X3_I0+2+0+0:vgprValuA_X3_I0+2+0+0+1], v[48:63]
/*  mfmaIndex:27  */
v_mfma_f32_32x32x8bf16_1k v[32+0:47+0], v[vgprValuB_X3_I0+2+0+0:vgprValuB_X3_I0+2+0+0+1], v[vgprValuA_X3_I0+0+0+0:vgprValuA_X3_I0+0+0+0+1], v[32:47]
/*  mfmaIndex:28  */
	;; [unrolled: 2-line block ×5, first 2 shown]
v_mfma_f32_32x32x8bf16_1k v[96+0:111+0], v[vgprValuB_X3_I0+6+0+0:vgprValuB_X3_I0+6+0+0+1], v[vgprValuA_X3_I0+0+0+0:vgprValuA_X3_I0+0+0+0+1], v[96:111]
/* numPrefetchIter=0 */
/* dataAtIterA=2 numReadsIterA=3 skipReadsIterA=0 readsPerIterA=8 */
/* dataAtIterB=2 numReadsIterB=3 skipReadsIterB=0 readsPerIterB=16 */

/* Stores for OptNLL */
Summation_End_OptNLL_16:
/* endSummation: add vgpr [128...208) to pool */
.set NumFullBlocks, UNDEF
.set WgmRemainder1, UNDEF
.set MagicNumberWgmRemainder1, UNDEF

/* Mapping of Acc register -> C Vgpr register */

/* Multiply MI out register with Alpha -> C Vgpr register */
/* computeStoreVgprs */
v_lshrrev_b32 v132, 6, v[vgprSerial]               // v132 = v[vgprSerial] / 64
v_and_b32 v129, 63, v[vgprSerial]                  // v129 = v[vgprSerial] % 64
v_lshrrev_b32 v129, 5, v129                        // v129 = v129 / 32
v_lshlrev_b32 v129, 0x2, v129                      // thread0 * continuous_output
v_lshrrev_b32 v133, 1, v132                        // v133 = v132 / 2
v_mul_lo_u32 v133, 0x20, v133                      // wave coordination offset 1
_v_add_lshl_u32 v129, v133, v129, 1                // coordination 1 = vwb *(wave_id1 + tid1)
v_mul_lo_u32 v130, v129, s[sgprStrideC1J]          //  offset 1
v_mul_lo_u32 v131, v129, s[sgprStrideD1J]          //  offset 1
v_and_b32 v133, 1, v132                            // v133 = v132 % 2
v_mul_lo_u32 v133, 0x20, v133                      // wave coordination offset 0
v_and_b32 v128, 31, v[vgprSerial]                  // v128 = v[vgprSerial] % 32
_v_add_lshl_u32 v128, v133, v128, 1                // coordination 0 = vwa *(wave_id0 + tid0)
s_mul_i32 s31, 128, s[sgprWorkGroup0]              // wgp0 * MT0
_v_add_u32 v128, s31, v128                         // coord 0 = (tid0/MI_m)*4 + waveG0*MIB_m + MT0*SG0
s_mul_i32 s31, 256, s[sgprWorkGroup1]              // wgp1 * MT1
_v_add_u32 v129, s31, v129                         // coord 1 = (tid0%MI_m) + waveG1*MIB_n + MT1*SG1
GW_B0_E0_19:

/* edge=0, allocate 2 sgpr. perBatchTmpS=2 perBatchMaskS=0 perElementMaskS=0 elementsPerBatch=56 */
/* optSingleColVgpr=1 optSharedColVgpr=0 optSGPRUsage=BufferLoad_Mask optSrdIncForRow=1 */

/******************************************/
/* Global Write Batch #0 (d1,d0,vc1,vc0) = */
/*    (0,0,0,0:vw2); (0,0,1,0:vw2); (0,0,2,0:vw2); (0,0,3,0:vw2); (0,0,4,0:vw2); (0,0,5,0:vw2); (0,0,6,0:vw2); (0,0,7,0:vw2); (1,0,0,0:vw2); (1,0,1,0:vw2); (1,0,2,0:vw2); (1,0,3,0:vw2); (1,0,4,0:vw2); (1,0,5,0:vw2); (1,0,6,0:vw2); (1,0,7,0:vw2); (2,0,0,0:vw2); (2,0,1,0:vw2); (2,0,2,0:vw2); (2,0,3,0:vw2); (2,0,4,0:vw2); (2,0,5,0:vw2); (2,0,6,0:vw2); (2,0,7,0:vw2); (3,0,0,0:vw2); (3,0,1,0:vw2); (3,0,2,0:vw2); (3,0,3,0:vw2); (3,0,4,0:vw2); (3,0,5,0:vw2); (3,0,6,0:vw2); (3,0,7,0:vw2); (4,0,0,0:vw2); (4,0,1,0:vw2); (4,0,2,0:vw2); (4,0,3,0:vw2); (4,0,4,0:vw2); (4,0,5,0:vw2); (4,0,6,0:vw2); (4,0,7,0:vw2); (5,0,0,0:vw2); (5,0,1,0:vw2); (5,0,2,0:vw2); (5,0,3,0:vw2); (5,0,4,0:vw2); (5,0,5,0:vw2); (5,0,6,0:vw2); (5,0,7,0:vw2); (6,0,0,0:vw2); (6,0,1,0:vw2); (6,0,2,0:vw2); (6,0,3,0:vw2); (6,0,4,0:vw2); (6,0,5,0:vw2); (6,0,6,0:vw2); (6,0,7,0:vw2) */
/******************************************/

/* calc coords, apply mask, and issue loads (if necessary) */
/* (d1,vc1,d0,vc0)=(0,0,0,0) */
/* (d1,vc1,d0,vc0)=(0,1,0,0) */
	;; [unrolled: 1-line block ×56, first 2 shown]
_v_add_lshl_u32 v138, v131, v128, 0x1              // optSingleColVgpr scaleToBpe: sharedAddrVgpr <- cinRowPtr + coord0, scaled by BPE. BSHERE:coord0=128, coord0Vgpr=128
v_mov_b32 v[vgprValuC+140], v[vgprValuC+0] // copy MI out reg to vreg[0]
v_mov_b32 v[vgprValuC+141], v[vgprValuC+16] // copy MI out reg to vreg[1]
	;; [unrolled: 1-line block ×112, first 2 shown]

/* apply mask, calc new C and issue writes */
v_mov_b32 v135, 0xffff0000                         // mask for pack two bfloat16 element to 32bit
v_mov_b32 v136, 0x7fff0000                         // fp32 Nan
v_mov_b32 v137, 0x7fff                             // rounding bias for bfloat16
v_cmp_u_f32 s[32:33], v[vgprValuC+140], v[vgprValuC+140] // check Nan
v_bfe_u32 v134, v[vgprValuC+140], 16, 1            // Non-Nan case: store lsb of bf16
v_add3_u32 v134, v[vgprValuC+140], v134, v137      // Non-Nan case: add lsb and the increment for rounding
v_cndmask_b32 v[vgprValuC+140], v134, v136, s[32:33] // 
v_lshrrev_b32 v[vgprValuC+140], 16, v[vgprValuC+140] // convert C to bf16
v_cmp_u_f32 s[32:33], v[vgprValuC+141], v[vgprValuC+141] // check Nan
v_bfe_u32 v134, v[vgprValuC+141], 16, 1            // Non-Nan case: store lsb of bf16
v_add3_u32 v134, v[vgprValuC+141], v134, v137      // Non-Nan case: add lsb and the increment for rounding
v_cndmask_b32 v[vgprValuC+141], v134, v136, s[32:33] // 
v_and_or_b32 v140, v[vgprValuC+141], v135, v[vgprValuC+140] // pack two bf16 to dword
_buffer_store_b32 v140, v138, s[sgprSrdD:sgprSrdD+3], 0, offen, offset:0,  glc slc // store D
v_cmp_u_f32 s[32:33], v[vgprValuC+142], v[vgprValuC+142] // check Nan
v_bfe_u32 v134, v[vgprValuC+142], 16, 1            // Non-Nan case: store lsb of bf16
v_add3_u32 v134, v[vgprValuC+142], v134, v137      // Non-Nan case: add lsb and the increment for rounding
v_cndmask_b32 v[vgprValuC+142], v134, v136, s[32:33] // 
v_lshrrev_b32 v[vgprValuC+142], 16, v[vgprValuC+142] // convert C to bf16
v_cmp_u_f32 s[32:33], v[vgprValuC+143], v[vgprValuC+143] // check Nan
v_bfe_u32 v134, v[vgprValuC+143], 16, 1            // Non-Nan case: store lsb of bf16
v_add3_u32 v134, v[vgprValuC+143], v134, v137      // Non-Nan case: add lsb and the increment for rounding
v_cndmask_b32 v[vgprValuC+143], v134, v136, s[32:33] // 
v_and_or_b32 v142, v[vgprValuC+143], v135, v[vgprValuC+142] // pack two bf16 to dword
s_lshl_b32  s32, s[sgprStrideD1J], 1               // incToNextRow: Scale by BPE
s_add_u32  s[sgprSrdD+0], s[sgprSrdD+0], s32       // incToNextRow: gra SRD += inc(lower)
s_addc_u32  s[sgprSrdD+1], s[sgprSrdD+1], 0        // incToNextRow: gra SRD += inc(upper)
_buffer_store_b32 v142, v138, s[sgprSrdD:sgprSrdD+3], 0, offen, offset:0,  glc slc // store D
v_cmp_u_f32 s[32:33], v[vgprValuC+144], v[vgprValuC+144] // check Nan
v_bfe_u32 v134, v[vgprValuC+144], 16, 1            // Non-Nan case: store lsb of bf16
v_add3_u32 v134, v[vgprValuC+144], v134, v137      // Non-Nan case: add lsb and the increment for rounding
v_cndmask_b32 v[vgprValuC+144], v134, v136, s[32:33] // 
v_lshrrev_b32 v[vgprValuC+144], 16, v[vgprValuC+144] // convert C to bf16
v_cmp_u_f32 s[32:33], v[vgprValuC+145], v[vgprValuC+145] // check Nan
v_bfe_u32 v134, v[vgprValuC+145], 16, 1            // Non-Nan case: store lsb of bf16
v_add3_u32 v134, v[vgprValuC+145], v134, v137      // Non-Nan case: add lsb and the increment for rounding
v_cndmask_b32 v[vgprValuC+145], v134, v136, s[32:33] // 
v_and_or_b32 v144, v[vgprValuC+145], v135, v[vgprValuC+144] // pack two bf16 to dword
s_lshl_b32  s32, s[sgprStrideD1J], 1               // incToNextRow: Scale by BPE
s_add_u32  s[sgprSrdD+0], s[sgprSrdD+0], s32       // incToNextRow: gra SRD += inc(lower)
s_addc_u32  s[sgprSrdD+1], s[sgprSrdD+1], 0        // incToNextRow: gra SRD += inc(upper)
	;; [unrolled: 14-line block ×7, first 2 shown]
_buffer_store_b32 v154, v138, s[sgprSrdD:sgprSrdD+3], 0, offen, offset:0,  glc slc // store D
v_cmp_u_f32 s[32:33], v[vgprValuC+156], v[vgprValuC+156] // check Nan
v_bfe_u32 v134, v[vgprValuC+156], 16, 1            // Non-Nan case: store lsb of bf16
v_add3_u32 v134, v[vgprValuC+156], v134, v137      // Non-Nan case: add lsb and the increment for rounding
v_cndmask_b32 v[vgprValuC+156], v134, v136, s[32:33] // 
v_lshrrev_b32 v[vgprValuC+156], 16, v[vgprValuC+156] // convert C to bf16
v_cmp_u_f32 s[32:33], v[vgprValuC+157], v[vgprValuC+157] // check Nan
v_bfe_u32 v134, v[vgprValuC+157], 16, 1            // Non-Nan case: store lsb of bf16
v_add3_u32 v134, v[vgprValuC+157], v134, v137      // Non-Nan case: add lsb and the increment for rounding
v_cndmask_b32 v[vgprValuC+157], v134, v136, s[32:33] // 
v_and_or_b32 v156, v[vgprValuC+157], v135, v[vgprValuC+156] // pack two bf16 to dword
s_mul_i32 s32, s[sgprStrideD1J], 18                // scale StrideD *= numRows(9) * bpe
s_add_u32  s[sgprSrdD+0], s[sgprSrdD+0], s32       // incToNextRow: gra SRD += inc(lower)
s_addc_u32  s[sgprSrdD+1], s[sgprSrdD+1], 0        // incToNextRow: gra SRD += inc(upper)
_buffer_store_b32 v156, v138, s[sgprSrdD:sgprSrdD+3], 0, offen, offset:0,  glc slc // store D
v_cmp_u_f32 s[32:33], v[vgprValuC+158], v[vgprValuC+158] // check Nan
v_bfe_u32 v134, v[vgprValuC+158], 16, 1            // Non-Nan case: store lsb of bf16
v_add3_u32 v134, v[vgprValuC+158], v134, v137      // Non-Nan case: add lsb and the increment for rounding
v_cndmask_b32 v[vgprValuC+158], v134, v136, s[32:33] // 
v_lshrrev_b32 v[vgprValuC+158], 16, v[vgprValuC+158] // convert C to bf16
v_cmp_u_f32 s[32:33], v[vgprValuC+159], v[vgprValuC+159] // check Nan
v_bfe_u32 v134, v[vgprValuC+159], 16, 1            // Non-Nan case: store lsb of bf16
v_add3_u32 v134, v[vgprValuC+159], v134, v137      // Non-Nan case: add lsb and the increment for rounding
v_cndmask_b32 v[vgprValuC+159], v134, v136, s[32:33] // 
v_and_or_b32 v158, v[vgprValuC+159], v135, v[vgprValuC+158] // pack two bf16 to dword
s_lshl_b32  s32, s[sgprStrideD1J], 1               // incToNextRow: Scale by BPE
s_add_u32  s[sgprSrdD+0], s[sgprSrdD+0], s32       // incToNextRow: gra SRD += inc(lower)
s_addc_u32  s[sgprSrdD+1], s[sgprSrdD+1], 0        // incToNextRow: gra SRD += inc(upper)
_buffer_store_b32 v158, v138, s[sgprSrdD:sgprSrdD+3], 0, offen, offset:0,  glc slc // store D
v_cmp_u_f32 s[32:33], v[vgprValuC+160], v[vgprValuC+160] // check Nan
v_bfe_u32 v134, v[vgprValuC+160], 16, 1            // Non-Nan case: store lsb of bf16
v_add3_u32 v134, v[vgprValuC+160], v134, v137      // Non-Nan case: add lsb and the increment for rounding
v_cndmask_b32 v[vgprValuC+160], v134, v136, s[32:33] // 
v_lshrrev_b32 v[vgprValuC+160], 16, v[vgprValuC+160] // convert C to bf16
v_cmp_u_f32 s[32:33], v[vgprValuC+161], v[vgprValuC+161] // check Nan
v_bfe_u32 v134, v[vgprValuC+161], 16, 1            // Non-Nan case: store lsb of bf16
v_add3_u32 v134, v[vgprValuC+161], v134, v137      // Non-Nan case: add lsb and the increment for rounding
v_cndmask_b32 v[vgprValuC+161], v134, v136, s[32:33] // 
v_and_or_b32 v160, v[vgprValuC+161], v135, v[vgprValuC+160] // pack two bf16 to dword
s_lshl_b32  s32, s[sgprStrideD1J], 1               // incToNextRow: Scale by BPE
	;; [unrolled: 14-line block ×7, first 2 shown]
s_add_u32  s[sgprSrdD+0], s[sgprSrdD+0], s32       // incToNextRow: gra SRD += inc(lower)
s_addc_u32  s[sgprSrdD+1], s[sgprSrdD+1], 0        // incToNextRow: gra SRD += inc(upper)
_buffer_store_b32 v170, v138, s[sgprSrdD:sgprSrdD+3], 0, offen, offset:0,  glc slc // store D
v_cmp_u_f32 s[32:33], v[vgprValuC+172], v[vgprValuC+172] // check Nan
v_bfe_u32 v134, v[vgprValuC+172], 16, 1            // Non-Nan case: store lsb of bf16
v_add3_u32 v134, v[vgprValuC+172], v134, v137      // Non-Nan case: add lsb and the increment for rounding
v_cndmask_b32 v[vgprValuC+172], v134, v136, s[32:33] // 
v_lshrrev_b32 v[vgprValuC+172], 16, v[vgprValuC+172] // convert C to bf16
v_cmp_u_f32 s[32:33], v[vgprValuC+173], v[vgprValuC+173] // check Nan
v_bfe_u32 v134, v[vgprValuC+173], 16, 1            // Non-Nan case: store lsb of bf16
v_add3_u32 v134, v[vgprValuC+173], v134, v137      // Non-Nan case: add lsb and the increment for rounding
v_cndmask_b32 v[vgprValuC+173], v134, v136, s[32:33] // 
v_and_or_b32 v172, v[vgprValuC+173], v135, v[vgprValuC+172] // pack two bf16 to dword
s_mul_i32 s32, s[sgprStrideD1J], 18                // scale StrideD *= numRows(9) * bpe
s_add_u32  s[sgprSrdD+0], s[sgprSrdD+0], s32       // incToNextRow: gra SRD += inc(lower)
s_addc_u32  s[sgprSrdD+1], s[sgprSrdD+1], 0        // incToNextRow: gra SRD += inc(upper)
_buffer_store_b32 v172, v138, s[sgprSrdD:sgprSrdD+3], 0, offen, offset:0,  glc slc // store D
v_cmp_u_f32 s[32:33], v[vgprValuC+174], v[vgprValuC+174] // check Nan
v_bfe_u32 v134, v[vgprValuC+174], 16, 1            // Non-Nan case: store lsb of bf16
v_add3_u32 v134, v[vgprValuC+174], v134, v137      // Non-Nan case: add lsb and the increment for rounding
v_cndmask_b32 v[vgprValuC+174], v134, v136, s[32:33] // 
v_lshrrev_b32 v[vgprValuC+174], 16, v[vgprValuC+174] // convert C to bf16
v_cmp_u_f32 s[32:33], v[vgprValuC+175], v[vgprValuC+175] // check Nan
v_bfe_u32 v134, v[vgprValuC+175], 16, 1            // Non-Nan case: store lsb of bf16
v_add3_u32 v134, v[vgprValuC+175], v134, v137      // Non-Nan case: add lsb and the increment for rounding
v_cndmask_b32 v[vgprValuC+175], v134, v136, s[32:33] // 
v_and_or_b32 v174, v[vgprValuC+175], v135, v[vgprValuC+174] // pack two bf16 to dword
s_lshl_b32  s32, s[sgprStrideD1J], 1               // incToNextRow: Scale by BPE
s_add_u32  s[sgprSrdD+0], s[sgprSrdD+0], s32       // incToNextRow: gra SRD += inc(lower)
s_addc_u32  s[sgprSrdD+1], s[sgprSrdD+1], 0        // incToNextRow: gra SRD += inc(upper)
_buffer_store_b32 v174, v138, s[sgprSrdD:sgprSrdD+3], 0, offen, offset:0,  glc slc // store D
v_cmp_u_f32 s[32:33], v[vgprValuC+176], v[vgprValuC+176] // check Nan
v_bfe_u32 v134, v[vgprValuC+176], 16, 1            // Non-Nan case: store lsb of bf16
v_add3_u32 v134, v[vgprValuC+176], v134, v137      // Non-Nan case: add lsb and the increment for rounding
v_cndmask_b32 v[vgprValuC+176], v134, v136, s[32:33] // 
v_lshrrev_b32 v[vgprValuC+176], 16, v[vgprValuC+176] // convert C to bf16
v_cmp_u_f32 s[32:33], v[vgprValuC+177], v[vgprValuC+177] // check Nan
v_bfe_u32 v134, v[vgprValuC+177], 16, 1            // Non-Nan case: store lsb of bf16
v_add3_u32 v134, v[vgprValuC+177], v134, v137      // Non-Nan case: add lsb and the increment for rounding
v_cndmask_b32 v[vgprValuC+177], v134, v136, s[32:33] // 
v_and_or_b32 v176, v[vgprValuC+177], v135, v[vgprValuC+176] // pack two bf16 to dword
s_lshl_b32  s32, s[sgprStrideD1J], 1               // incToNextRow: Scale by BPE
	;; [unrolled: 14-line block ×7, first 2 shown]
s_add_u32  s[sgprSrdD+0], s[sgprSrdD+0], s32       // incToNextRow: gra SRD += inc(lower)
s_addc_u32  s[sgprSrdD+1], s[sgprSrdD+1], 0        // incToNextRow: gra SRD += inc(upper)
_buffer_store_b32 v186, v138, s[sgprSrdD:sgprSrdD+3], 0, offen, offset:0,  glc slc // store D
v_cmp_u_f32 s[32:33], v[vgprValuC+188], v[vgprValuC+188] // check Nan
v_bfe_u32 v134, v[vgprValuC+188], 16, 1            // Non-Nan case: store lsb of bf16
v_add3_u32 v134, v[vgprValuC+188], v134, v137      // Non-Nan case: add lsb and the increment for rounding
v_cndmask_b32 v[vgprValuC+188], v134, v136, s[32:33] // 
v_lshrrev_b32 v[vgprValuC+188], 16, v[vgprValuC+188] // convert C to bf16
v_cmp_u_f32 s[32:33], v[vgprValuC+189], v[vgprValuC+189] // check Nan
v_bfe_u32 v134, v[vgprValuC+189], 16, 1            // Non-Nan case: store lsb of bf16
v_add3_u32 v134, v[vgprValuC+189], v134, v137      // Non-Nan case: add lsb and the increment for rounding
v_cndmask_b32 v[vgprValuC+189], v134, v136, s[32:33] // 
v_and_or_b32 v188, v[vgprValuC+189], v135, v[vgprValuC+188] // pack two bf16 to dword
s_mul_i32 s32, s[sgprStrideD1J], 18                // scale StrideD *= numRows(9) * bpe
s_add_u32  s[sgprSrdD+0], s[sgprSrdD+0], s32       // incToNextRow: gra SRD += inc(lower)
s_addc_u32  s[sgprSrdD+1], s[sgprSrdD+1], 0        // incToNextRow: gra SRD += inc(upper)
_buffer_store_b32 v188, v138, s[sgprSrdD:sgprSrdD+3], 0, offen, offset:0,  glc slc // store D
v_cmp_u_f32 s[32:33], v[vgprValuC+190], v[vgprValuC+190] // check Nan
v_bfe_u32 v134, v[vgprValuC+190], 16, 1            // Non-Nan case: store lsb of bf16
v_add3_u32 v134, v[vgprValuC+190], v134, v137      // Non-Nan case: add lsb and the increment for rounding
v_cndmask_b32 v[vgprValuC+190], v134, v136, s[32:33] // 
v_lshrrev_b32 v[vgprValuC+190], 16, v[vgprValuC+190] // convert C to bf16
v_cmp_u_f32 s[32:33], v[vgprValuC+191], v[vgprValuC+191] // check Nan
v_bfe_u32 v134, v[vgprValuC+191], 16, 1            // Non-Nan case: store lsb of bf16
v_add3_u32 v134, v[vgprValuC+191], v134, v137      // Non-Nan case: add lsb and the increment for rounding
v_cndmask_b32 v[vgprValuC+191], v134, v136, s[32:33] // 
v_and_or_b32 v190, v[vgprValuC+191], v135, v[vgprValuC+190] // pack two bf16 to dword
s_lshl_b32  s32, s[sgprStrideD1J], 1               // incToNextRow: Scale by BPE
s_add_u32  s[sgprSrdD+0], s[sgprSrdD+0], s32       // incToNextRow: gra SRD += inc(lower)
s_addc_u32  s[sgprSrdD+1], s[sgprSrdD+1], 0        // incToNextRow: gra SRD += inc(upper)
_buffer_store_b32 v190, v138, s[sgprSrdD:sgprSrdD+3], 0, offen, offset:0,  glc slc // store D
v_cmp_u_f32 s[32:33], v[vgprValuC+192], v[vgprValuC+192] // check Nan
v_bfe_u32 v134, v[vgprValuC+192], 16, 1            // Non-Nan case: store lsb of bf16
v_add3_u32 v134, v[vgprValuC+192], v134, v137      // Non-Nan case: add lsb and the increment for rounding
v_cndmask_b32 v[vgprValuC+192], v134, v136, s[32:33] // 
v_lshrrev_b32 v[vgprValuC+192], 16, v[vgprValuC+192] // convert C to bf16
v_cmp_u_f32 s[32:33], v[vgprValuC+193], v[vgprValuC+193] // check Nan
v_bfe_u32 v134, v[vgprValuC+193], 16, 1            // Non-Nan case: store lsb of bf16
v_add3_u32 v134, v[vgprValuC+193], v134, v137      // Non-Nan case: add lsb and the increment for rounding
v_cndmask_b32 v[vgprValuC+193], v134, v136, s[32:33] // 
v_and_or_b32 v192, v[vgprValuC+193], v135, v[vgprValuC+192] // pack two bf16 to dword
s_lshl_b32  s32, s[sgprStrideD1J], 1               // incToNextRow: Scale by BPE
	;; [unrolled: 14-line block ×7, first 2 shown]
s_add_u32  s[sgprSrdD+0], s[sgprSrdD+0], s32       // incToNextRow: gra SRD += inc(lower)
s_addc_u32  s[sgprSrdD+1], s[sgprSrdD+1], 0        // incToNextRow: gra SRD += inc(upper)
_buffer_store_b32 v202, v138, s[sgprSrdD:sgprSrdD+3], 0, offen, offset:0,  glc slc // store D
v_cmp_u_f32 s[32:33], v[vgprValuC+204], v[vgprValuC+204] // check Nan
v_bfe_u32 v134, v[vgprValuC+204], 16, 1            // Non-Nan case: store lsb of bf16
v_add3_u32 v134, v[vgprValuC+204], v134, v137      // Non-Nan case: add lsb and the increment for rounding
v_cndmask_b32 v[vgprValuC+204], v134, v136, s[32:33] // 
v_lshrrev_b32 v[vgprValuC+204], 16, v[vgprValuC+204] // convert C to bf16
v_cmp_u_f32 s[32:33], v[vgprValuC+205], v[vgprValuC+205] // check Nan
v_bfe_u32 v134, v[vgprValuC+205], 16, 1            // Non-Nan case: store lsb of bf16
v_add3_u32 v134, v[vgprValuC+205], v134, v137      // Non-Nan case: add lsb and the increment for rounding
v_cndmask_b32 v[vgprValuC+205], v134, v136, s[32:33] // 
v_and_or_b32 v204, v[vgprValuC+205], v135, v[vgprValuC+204] // pack two bf16 to dword
s_mul_i32 s32, s[sgprStrideD1J], 146               // scale StrideD *= numRows(73) * bpe
s_add_u32  s[sgprSrdD+0], s[sgprSrdD+0], s32       // incToNextRow: gra SRD += inc(lower)
s_addc_u32  s[sgprSrdD+1], s[sgprSrdD+1], 0        // incToNextRow: gra SRD += inc(upper)
_buffer_store_b32 v204, v138, s[sgprSrdD:sgprSrdD+3], 0, offen, offset:0,  glc slc // store D
v_cmp_u_f32 s[32:33], v[vgprValuC+206], v[vgprValuC+206] // check Nan
v_bfe_u32 v134, v[vgprValuC+206], 16, 1            // Non-Nan case: store lsb of bf16
v_add3_u32 v134, v[vgprValuC+206], v134, v137      // Non-Nan case: add lsb and the increment for rounding
v_cndmask_b32 v[vgprValuC+206], v134, v136, s[32:33] // 
v_lshrrev_b32 v[vgprValuC+206], 16, v[vgprValuC+206] // convert C to bf16
v_cmp_u_f32 s[32:33], v[vgprValuC+207], v[vgprValuC+207] // check Nan
v_bfe_u32 v134, v[vgprValuC+207], 16, 1            // Non-Nan case: store lsb of bf16
v_add3_u32 v134, v[vgprValuC+207], v134, v137      // Non-Nan case: add lsb and the increment for rounding
v_cndmask_b32 v[vgprValuC+207], v134, v136, s[32:33] // 
v_and_or_b32 v206, v[vgprValuC+207], v135, v[vgprValuC+206] // pack two bf16 to dword
s_lshl_b32  s32, s[sgprStrideD1J], 1               // incToNextRow: Scale by BPE
s_add_u32  s[sgprSrdD+0], s[sgprSrdD+0], s32       // incToNextRow: gra SRD += inc(lower)
s_addc_u32  s[sgprSrdD+1], s[sgprSrdD+1], 0        // incToNextRow: gra SRD += inc(upper)
_buffer_store_b32 v206, v138, s[sgprSrdD:sgprSrdD+3], 0, offen, offset:0,  glc slc // store D
v_cmp_u_f32 s[32:33], v[vgprValuC+212], v[vgprValuC+212] // check Nan
v_bfe_u32 v134, v[vgprValuC+212], 16, 1            // Non-Nan case: store lsb of bf16
v_add3_u32 v134, v[vgprValuC+212], v134, v137      // Non-Nan case: add lsb and the increment for rounding
v_cndmask_b32 v[vgprValuC+212], v134, v136, s[32:33] // 
v_lshrrev_b32 v[vgprValuC+212], 16, v[vgprValuC+212] // convert C to bf16
v_cmp_u_f32 s[32:33], v[vgprValuC+213], v[vgprValuC+213] // check Nan
v_bfe_u32 v134, v[vgprValuC+213], 16, 1            // Non-Nan case: store lsb of bf16
v_add3_u32 v134, v[vgprValuC+213], v134, v137      // Non-Nan case: add lsb and the increment for rounding
v_cndmask_b32 v[vgprValuC+213], v134, v136, s[32:33] // 
v_and_or_b32 v212, v[vgprValuC+213], v135, v[vgprValuC+212] // pack two bf16 to dword
s_lshl_b32  s32, s[sgprStrideD1J], 1               // incToNextRow: Scale by BPE
	;; [unrolled: 14-line block ×7, first 2 shown]
s_add_u32  s[sgprSrdD+0], s[sgprSrdD+0], s32       // incToNextRow: gra SRD += inc(lower)
s_addc_u32  s[sgprSrdD+1], s[sgprSrdD+1], 0        // incToNextRow: gra SRD += inc(upper)
_buffer_store_b32 v222, v138, s[sgprSrdD:sgprSrdD+3], 0, offen, offset:0,  glc slc // store D
v_cmp_u_f32 s[32:33], v[vgprValuC+224], v[vgprValuC+224] // check Nan
v_bfe_u32 v134, v[vgprValuC+224], 16, 1            // Non-Nan case: store lsb of bf16
v_add3_u32 v134, v[vgprValuC+224], v134, v137      // Non-Nan case: add lsb and the increment for rounding
v_cndmask_b32 v[vgprValuC+224], v134, v136, s[32:33] // 
v_lshrrev_b32 v[vgprValuC+224], 16, v[vgprValuC+224] // convert C to bf16
v_cmp_u_f32 s[32:33], v[vgprValuC+225], v[vgprValuC+225] // check Nan
v_bfe_u32 v134, v[vgprValuC+225], 16, 1            // Non-Nan case: store lsb of bf16
v_add3_u32 v134, v[vgprValuC+225], v134, v137      // Non-Nan case: add lsb and the increment for rounding
v_cndmask_b32 v[vgprValuC+225], v134, v136, s[32:33] // 
v_and_or_b32 v224, v[vgprValuC+225], v135, v[vgprValuC+224] // pack two bf16 to dword
s_mul_i32 s32, s[sgprStrideD1J], 18                // scale StrideD *= numRows(9) * bpe
s_add_u32  s[sgprSrdD+0], s[sgprSrdD+0], s32       // incToNextRow: gra SRD += inc(lower)
s_addc_u32  s[sgprSrdD+1], s[sgprSrdD+1], 0        // incToNextRow: gra SRD += inc(upper)
_buffer_store_b32 v224, v138, s[sgprSrdD:sgprSrdD+3], 0, offen, offset:0,  glc slc // store D
v_cmp_u_f32 s[32:33], v[vgprValuC+226], v[vgprValuC+226] // check Nan
v_bfe_u32 v134, v[vgprValuC+226], 16, 1            // Non-Nan case: store lsb of bf16
v_add3_u32 v134, v[vgprValuC+226], v134, v137      // Non-Nan case: add lsb and the increment for rounding
v_cndmask_b32 v[vgprValuC+226], v134, v136, s[32:33] // 
v_lshrrev_b32 v[vgprValuC+226], 16, v[vgprValuC+226] // convert C to bf16
v_cmp_u_f32 s[32:33], v[vgprValuC+227], v[vgprValuC+227] // check Nan
v_bfe_u32 v134, v[vgprValuC+227], 16, 1            // Non-Nan case: store lsb of bf16
v_add3_u32 v134, v[vgprValuC+227], v134, v137      // Non-Nan case: add lsb and the increment for rounding
v_cndmask_b32 v[vgprValuC+227], v134, v136, s[32:33] // 
v_and_or_b32 v226, v[vgprValuC+227], v135, v[vgprValuC+226] // pack two bf16 to dword
s_lshl_b32  s32, s[sgprStrideD1J], 1               // incToNextRow: Scale by BPE
s_add_u32  s[sgprSrdD+0], s[sgprSrdD+0], s32       // incToNextRow: gra SRD += inc(lower)
s_addc_u32  s[sgprSrdD+1], s[sgprSrdD+1], 0        // incToNextRow: gra SRD += inc(upper)
_buffer_store_b32 v226, v138, s[sgprSrdD:sgprSrdD+3], 0, offen, offset:0,  glc slc // store D
v_cmp_u_f32 s[32:33], v[vgprValuC+228], v[vgprValuC+228] // check Nan
v_bfe_u32 v134, v[vgprValuC+228], 16, 1            // Non-Nan case: store lsb of bf16
v_add3_u32 v134, v[vgprValuC+228], v134, v137      // Non-Nan case: add lsb and the increment for rounding
v_cndmask_b32 v[vgprValuC+228], v134, v136, s[32:33] // 
v_lshrrev_b32 v[vgprValuC+228], 16, v[vgprValuC+228] // convert C to bf16
v_cmp_u_f32 s[32:33], v[vgprValuC+229], v[vgprValuC+229] // check Nan
v_bfe_u32 v134, v[vgprValuC+229], 16, 1            // Non-Nan case: store lsb of bf16
v_add3_u32 v134, v[vgprValuC+229], v134, v137      // Non-Nan case: add lsb and the increment for rounding
v_cndmask_b32 v[vgprValuC+229], v134, v136, s[32:33] // 
v_and_or_b32 v228, v[vgprValuC+229], v135, v[vgprValuC+228] // pack two bf16 to dword
s_lshl_b32  s32, s[sgprStrideD1J], 1               // incToNextRow: Scale by BPE
	;; [unrolled: 14-line block ×7, first 2 shown]
s_add_u32  s[sgprSrdD+0], s[sgprSrdD+0], s32       // incToNextRow: gra SRD += inc(lower)
s_addc_u32  s[sgprSrdD+1], s[sgprSrdD+1], 0        // incToNextRow: gra SRD += inc(upper)
_buffer_store_b32 v238, v138, s[sgprSrdD:sgprSrdD+3], 0, offen, offset:0,  glc slc // store D
v_cmp_u_f32 s[32:33], v[vgprValuC+240], v[vgprValuC+240] // check Nan
v_bfe_u32 v134, v[vgprValuC+240], 16, 1            // Non-Nan case: store lsb of bf16
v_add3_u32 v134, v[vgprValuC+240], v134, v137      // Non-Nan case: add lsb and the increment for rounding
v_cndmask_b32 v[vgprValuC+240], v134, v136, s[32:33] // 
v_lshrrev_b32 v[vgprValuC+240], 16, v[vgprValuC+240] // convert C to bf16
v_cmp_u_f32 s[32:33], v[vgprValuC+241], v[vgprValuC+241] // check Nan
v_bfe_u32 v134, v[vgprValuC+241], 16, 1            // Non-Nan case: store lsb of bf16
v_add3_u32 v134, v[vgprValuC+241], v134, v137      // Non-Nan case: add lsb and the increment for rounding
v_cndmask_b32 v[vgprValuC+241], v134, v136, s[32:33] // 
v_and_or_b32 v240, v[vgprValuC+241], v135, v[vgprValuC+240] // pack two bf16 to dword
s_mul_i32 s32, s[sgprStrideD1J], 18                // scale StrideD *= numRows(9) * bpe
s_add_u32  s[sgprSrdD+0], s[sgprSrdD+0], s32       // incToNextRow: gra SRD += inc(lower)
s_addc_u32  s[sgprSrdD+1], s[sgprSrdD+1], 0        // incToNextRow: gra SRD += inc(upper)
_buffer_store_b32 v240, v138, s[sgprSrdD:sgprSrdD+3], 0, offen, offset:0,  glc slc // store D
v_cmp_u_f32 s[32:33], v[vgprValuC+242], v[vgprValuC+242] // check Nan
v_bfe_u32 v134, v[vgprValuC+242], 16, 1            // Non-Nan case: store lsb of bf16
v_add3_u32 v134, v[vgprValuC+242], v134, v137      // Non-Nan case: add lsb and the increment for rounding
v_cndmask_b32 v[vgprValuC+242], v134, v136, s[32:33] // 
v_lshrrev_b32 v[vgprValuC+242], 16, v[vgprValuC+242] // convert C to bf16
v_cmp_u_f32 s[32:33], v[vgprValuC+243], v[vgprValuC+243] // check Nan
v_bfe_u32 v134, v[vgprValuC+243], 16, 1            // Non-Nan case: store lsb of bf16
v_add3_u32 v134, v[vgprValuC+243], v134, v137      // Non-Nan case: add lsb and the increment for rounding
v_cndmask_b32 v[vgprValuC+243], v134, v136, s[32:33] // 
v_and_or_b32 v242, v[vgprValuC+243], v135, v[vgprValuC+242] // pack two bf16 to dword
s_lshl_b32  s32, s[sgprStrideD1J], 1               // incToNextRow: Scale by BPE
s_add_u32  s[sgprSrdD+0], s[sgprSrdD+0], s32       // incToNextRow: gra SRD += inc(lower)
s_addc_u32  s[sgprSrdD+1], s[sgprSrdD+1], 0        // incToNextRow: gra SRD += inc(upper)
_buffer_store_b32 v242, v138, s[sgprSrdD:sgprSrdD+3], 0, offen, offset:0,  glc slc // store D
v_cmp_u_f32 s[32:33], v[vgprValuC+244], v[vgprValuC+244] // check Nan
v_bfe_u32 v134, v[vgprValuC+244], 16, 1            // Non-Nan case: store lsb of bf16
v_add3_u32 v134, v[vgprValuC+244], v134, v137      // Non-Nan case: add lsb and the increment for rounding
v_cndmask_b32 v[vgprValuC+244], v134, v136, s[32:33] // 
v_lshrrev_b32 v[vgprValuC+244], 16, v[vgprValuC+244] // convert C to bf16
v_cmp_u_f32 s[32:33], v[vgprValuC+245], v[vgprValuC+245] // check Nan
v_bfe_u32 v134, v[vgprValuC+245], 16, 1            // Non-Nan case: store lsb of bf16
v_add3_u32 v134, v[vgprValuC+245], v134, v137      // Non-Nan case: add lsb and the increment for rounding
v_cndmask_b32 v[vgprValuC+245], v134, v136, s[32:33] // 
v_and_or_b32 v244, v[vgprValuC+245], v135, v[vgprValuC+244] // pack two bf16 to dword
s_lshl_b32  s32, s[sgprStrideD1J], 1               // incToNextRow: Scale by BPE
s_add_u32  s[sgprSrdD+0], s[sgprSrdD+0], s32       // incToNextRow: gra SRD += inc(lower)
s_addc_u32  s[sgprSrdD+1], s[sgprSrdD+1], 0        // incToNextRow: gra SRD += inc(upper)
_buffer_store_b32 v244, v138, s[sgprSrdD:sgprSrdD+3], 0, offen, offset:0,  glc slc // store D
v_cmp_u_f32 s[32:33], v[vgprValuC+246], v[vgprValuC+246] // check Nan
v_bfe_u32 v134, v[vgprValuC+246], 16, 1            // Non-Nan case: store lsb of bf16
v_add3_u32 v134, v[vgprValuC+246], v134, v137      // Non-Nan case: add lsb and the increment for rounding
v_cndmask_b32 v[vgprValuC+246], v134, v136, s[32:33] // 
v_lshrrev_b32 v[vgprValuC+246], 16, v[vgprValuC+246] // convert C to bf16
v_cmp_u_f32 s[32:33], v[vgprValuC+247], v[vgprValuC+247] // check Nan
v_bfe_u32 v134, v[vgprValuC+247], 16, 1            // Non-Nan case: store lsb of bf16
v_add3_u32 v134, v[vgprValuC+247], v134, v137      // Non-Nan case: add lsb and the increment for rounding
v_cndmask_b32 v[vgprValuC+247], v134, v136, s[32:33] // 
v_and_or_b32 v246, v[vgprValuC+247], v135, v[vgprValuC+246] // pack two bf16 to dword
s_lshl_b32  s32, s[sgprStrideD1J], 1               // incToNextRow: Scale by BPE
s_add_u32  s[sgprSrdD+0], s[sgprSrdD+0], s32       // incToNextRow: gra SRD += inc(lower)
s_addc_u32  s[sgprSrdD+1], s[sgprSrdD+1], 0        // incToNextRow: gra SRD += inc(upper)
_buffer_store_b32 v246, v138, s[sgprSrdD:sgprSrdD+3], 0, offen, offset:0,  glc slc // store D
v_cmp_u_f32 s[32:33], v[vgprValuC+248], v[vgprValuC+248] // check Nan
v_bfe_u32 v134, v[vgprValuC+248], 16, 1            // Non-Nan case: store lsb of bf16
v_add3_u32 v134, v[vgprValuC+248], v134, v137      // Non-Nan case: add lsb and the increment for rounding
v_cndmask_b32 v[vgprValuC+248], v134, v136, s[32:33] // 
v_lshrrev_b32 v[vgprValuC+248], 16, v[vgprValuC+248] // convert C to bf16
v_cmp_u_f32 s[32:33], v[vgprValuC+249], v[vgprValuC+249] // check Nan
v_bfe_u32 v134, v[vgprValuC+249], 16, 1            // Non-Nan case: store lsb of bf16
v_add3_u32 v134, v[vgprValuC+249], v134, v137      // Non-Nan case: add lsb and the increment for rounding
v_cndmask_b32 v[vgprValuC+249], v134, v136, s[32:33] // 
v_and_or_b32 v248, v[vgprValuC+249], v135, v[vgprValuC+248] // pack two bf16 to dword
s_lshl_b32  s32, s[sgprStrideD1J], 1               // incToNextRow: Scale by BPE
s_add_u32  s[sgprSrdD+0], s[sgprSrdD+0], s32       // incToNextRow: gra SRD += inc(lower)
s_addc_u32  s[sgprSrdD+1], s[sgprSrdD+1], 0        // incToNextRow: gra SRD += inc(upper)
_buffer_store_b32 v248, v138, s[sgprSrdD:sgprSrdD+3], 0, offen, offset:0,  glc slc // store D
v_cmp_u_f32 s[32:33], v[vgprValuC+250], v[vgprValuC+250] // check Nan
v_bfe_u32 v134, v[vgprValuC+250], 16, 1            // Non-Nan case: store lsb of bf16
v_add3_u32 v134, v[vgprValuC+250], v134, v137      // Non-Nan case: add lsb and the increment for rounding
v_cndmask_b32 v[vgprValuC+250], v134, v136, s[32:33] // 
v_lshrrev_b32 v[vgprValuC+250], 16, v[vgprValuC+250] // convert C to bf16
v_cmp_u_f32 s[32:33], v[vgprValuC+251], v[vgprValuC+251] // check Nan
v_bfe_u32 v134, v[vgprValuC+251], 16, 1            // Non-Nan case: store lsb of bf16
v_add3_u32 v134, v[vgprValuC+251], v134, v137      // Non-Nan case: add lsb and the increment for rounding
v_cndmask_b32 v[vgprValuC+251], v134, v136, s[32:33] // 
v_and_or_b32 v250, v[vgprValuC+251], v135, v[vgprValuC+250] // pack two bf16 to dword
s_lshl_b32  s32, s[sgprStrideD1J], 1               // incToNextRow: Scale by BPE
s_add_u32  s[sgprSrdD+0], s[sgprSrdD+0], s32       // incToNextRow: gra SRD += inc(lower)
s_addc_u32  s[sgprSrdD+1], s[sgprSrdD+1], 0        // incToNextRow: gra SRD += inc(upper)
_buffer_store_b32 v250, v138, s[sgprSrdD:sgprSrdD+3], 0, offen, offset:0,  glc slc // store D
v_cmp_u_f32 s[32:33], v[vgprValuC+252], v[vgprValuC+252] // check Nan
v_bfe_u32 v134, v[vgprValuC+252], 16, 1            // Non-Nan case: store lsb of bf16
v_add3_u32 v134, v[vgprValuC+252], v134, v137      // Non-Nan case: add lsb and the increment for rounding
v_cndmask_b32 v[vgprValuC+252], v134, v136, s[32:33] // 
v_lshrrev_b32 v[vgprValuC+252], 16, v[vgprValuC+252] // convert C to bf16
v_cmp_u_f32 s[32:33], v[vgprValuC+253], v[vgprValuC+253] // check Nan
v_bfe_u32 v134, v[vgprValuC+253], 16, 1            // Non-Nan case: store lsb of bf16
v_add3_u32 v134, v[vgprValuC+253], v134, v137      // Non-Nan case: add lsb and the increment for rounding
v_cndmask_b32 v[vgprValuC+253], v134, v136, s[32:33] // 
v_and_or_b32 v252, v[vgprValuC+253], v135, v[vgprValuC+252] // pack two bf16 to dword
s_lshl_b32  s32, s[sgprStrideD1J], 1               // incToNextRow: Scale by BPE
s_add_u32  s[sgprSrdD+0], s[sgprSrdD+0], s32       // incToNextRow: gra SRD += inc(lower)
s_addc_u32  s[sgprSrdD+1], s[sgprSrdD+1], 0        // incToNextRow: gra SRD += inc(upper)
_buffer_store_b32 v252, v138, s[sgprSrdD:sgprSrdD+3], 0, offen, offset:0,  glc slc // store D
v_cmp_u_f32 s[32:33], v[vgprValuC+254], v[vgprValuC+254] // check Nan
v_bfe_u32 v134, v[vgprValuC+254], 16, 1            // Non-Nan case: store lsb of bf16
v_add3_u32 v134, v[vgprValuC+254], v134, v137      // Non-Nan case: add lsb and the increment for rounding
v_cndmask_b32 v[vgprValuC+254], v134, v136, s[32:33] // 
v_lshrrev_b32 v[vgprValuC+254], 16, v[vgprValuC+254] // convert C to bf16
v_cmp_u_f32 s[32:33], v[vgprValuC+255], v[vgprValuC+255] // check Nan
v_bfe_u32 v134, v[vgprValuC+255], 16, 1            // Non-Nan case: store lsb of bf16
v_add3_u32 v134, v[vgprValuC+255], v134, v137      // Non-Nan case: add lsb and the increment for rounding
v_cndmask_b32 v[vgprValuC+255], v134, v136, s[32:33] // 
v_and_or_b32 v254, v[vgprValuC+255], v135, v[vgprValuC+254] // pack two bf16 to dword
s_lshl_b32  s32, s[sgprStrideD1J], 1               // incToNextRow: Scale by BPE
s_add_u32  s[sgprSrdD+0], s[sgprSrdD+0], s32       // incToNextRow: gra SRD += inc(lower)
s_addc_u32  s[sgprSrdD+1], s[sgprSrdD+1], 0        // incToNextRow: gra SRD += inc(upper)
_buffer_store_b32 v254, v138, s[sgprSrdD:sgprSrdD+3], 0, offen, offset:0,  glc slc // store D
s_nop 0                                            // 1 wait state required when next inst writes vgprs held by previous dwordx4 store inst
/* optSingleColVgpr=1 optSharedColVgpr=0 optSGPRUsage=BufferLoad_Mask optSrdIncForRow=1 */

/******************************************/
/* Global Write Batch #1 (d1,d0,vc1,vc0) = */
/*    (7,0,0,0:vw2); (7,0,1,0:vw2); (7,0,2,0:vw2); (7,0,3,0:vw2); (7,0,4,0:vw2); (7,0,5,0:vw2); (7,0,6,0:vw2); (7,0,7,0:vw2) */
/******************************************/

/* calc coords, apply mask, and issue loads (if necessary) */
/* (d1,vc1,d0,vc0)=(7,0,0,0) */
/* (d1,vc1,d0,vc0)=(7,1,0,0) */
	;; [unrolled: 1-line block ×8, first 2 shown]
v_mov_b32 v[vgprValuC+140], v[vgprValuC+76] // copy MI out reg to vreg[112]
v_mov_b32 v[vgprValuC+141], v[vgprValuC+92] // copy MI out reg to vreg[113]
	;; [unrolled: 1-line block ×16, first 2 shown]

/* apply mask, calc new C and issue writes */
v_mov_b32 v135, 0xffff0000                         // mask for pack two bfloat16 element to 32bit
v_mov_b32 v136, 0x7fff0000                         // fp32 Nan
v_mov_b32 v137, 0x7fff                             // rounding bias for bfloat16
v_cmp_u_f32 s[32:33], v[vgprValuC+140], v[vgprValuC+140] // check Nan
v_bfe_u32 v134, v[vgprValuC+140], 16, 1            // Non-Nan case: store lsb of bf16
v_add3_u32 v134, v[vgprValuC+140], v134, v137      // Non-Nan case: add lsb and the increment for rounding
v_cndmask_b32 v[vgprValuC+140], v134, v136, s[32:33] // 
v_lshrrev_b32 v[vgprValuC+140], 16, v[vgprValuC+140] // convert C to bf16
v_cmp_u_f32 s[32:33], v[vgprValuC+141], v[vgprValuC+141] // check Nan
v_bfe_u32 v134, v[vgprValuC+141], 16, 1            // Non-Nan case: store lsb of bf16
v_add3_u32 v134, v[vgprValuC+141], v134, v137      // Non-Nan case: add lsb and the increment for rounding
v_cndmask_b32 v[vgprValuC+141], v134, v136, s[32:33] // 
v_and_or_b32 v140, v[vgprValuC+141], v135, v[vgprValuC+140] // pack two bf16 to dword
s_mul_i32 s32, s[sgprStrideD1J], 18                // scale StrideD *= numRows(9) * bpe
s_add_u32  s[sgprSrdD+0], s[sgprSrdD+0], s32       // incToNextRow: gra SRD += inc(lower)
s_addc_u32  s[sgprSrdD+1], s[sgprSrdD+1], 0        // incToNextRow: gra SRD += inc(upper)
_buffer_store_b32 v140, v138, s[sgprSrdD:sgprSrdD+3], 0, offen, offset:0,  glc slc // store D
v_cmp_u_f32 s[32:33], v[vgprValuC+142], v[vgprValuC+142] // check Nan
v_bfe_u32 v134, v[vgprValuC+142], 16, 1            // Non-Nan case: store lsb of bf16
v_add3_u32 v134, v[vgprValuC+142], v134, v137      // Non-Nan case: add lsb and the increment for rounding
v_cndmask_b32 v[vgprValuC+142], v134, v136, s[32:33] // 
v_lshrrev_b32 v[vgprValuC+142], 16, v[vgprValuC+142] // convert C to bf16
v_cmp_u_f32 s[32:33], v[vgprValuC+143], v[vgprValuC+143] // check Nan
v_bfe_u32 v134, v[vgprValuC+143], 16, 1            // Non-Nan case: store lsb of bf16
v_add3_u32 v134, v[vgprValuC+143], v134, v137      // Non-Nan case: add lsb and the increment for rounding
v_cndmask_b32 v[vgprValuC+143], v134, v136, s[32:33] // 
v_and_or_b32 v142, v[vgprValuC+143], v135, v[vgprValuC+142] // pack two bf16 to dword
s_lshl_b32  s32, s[sgprStrideD1J], 1               // incToNextRow: Scale by BPE
s_add_u32  s[sgprSrdD+0], s[sgprSrdD+0], s32       // incToNextRow: gra SRD += inc(lower)
s_addc_u32  s[sgprSrdD+1], s[sgprSrdD+1], 0        // incToNextRow: gra SRD += inc(upper)
_buffer_store_b32 v142, v138, s[sgprSrdD:sgprSrdD+3], 0, offen, offset:0,  glc slc // store D
v_cmp_u_f32 s[32:33], v[vgprValuC+144], v[vgprValuC+144] // check Nan
v_bfe_u32 v134, v[vgprValuC+144], 16, 1            // Non-Nan case: store lsb of bf16
v_add3_u32 v134, v[vgprValuC+144], v134, v137      // Non-Nan case: add lsb and the increment for rounding
v_cndmask_b32 v[vgprValuC+144], v134, v136, s[32:33] // 
v_lshrrev_b32 v[vgprValuC+144], 16, v[vgprValuC+144] // convert C to bf16
v_cmp_u_f32 s[32:33], v[vgprValuC+145], v[vgprValuC+145] // check Nan
v_bfe_u32 v134, v[vgprValuC+145], 16, 1            // Non-Nan case: store lsb of bf16
v_add3_u32 v134, v[vgprValuC+145], v134, v137      // Non-Nan case: add lsb and the increment for rounding
v_cndmask_b32 v[vgprValuC+145], v134, v136, s[32:33] // 
v_and_or_b32 v144, v[vgprValuC+145], v135, v[vgprValuC+144] // pack two bf16 to dword
s_lshl_b32  s32, s[sgprStrideD1J], 1               // incToNextRow: Scale by BPE
	;; [unrolled: 14-line block ×7, first 2 shown]
s_add_u32  s[sgprSrdD+0], s[sgprSrdD+0], s32       // incToNextRow: gra SRD += inc(lower)
s_addc_u32  s[sgprSrdD+1], s[sgprSrdD+1], 0        // incToNextRow: gra SRD += inc(upper)
_buffer_store_b32 v154, v138, s[sgprSrdD:sgprSrdD+3], 0, offen, offset:0,  glc slc // store D
s_nop 0                                            // 1 wait state required when next inst writes vgprs held by previous dwordx4 store inst
s_branch label_GW_End_21                           // jump to end
label_GW_End_21:

s_endpgm                                           // Kernel End
OptNLL_End_15:


/******************************************/
/* Ord. NoLoadLoop - Begin                                      */
/******************************************/


	;; [unrolled: 1-line block ×4, first 2 shown]
/* iter 0 (last unrolled loop) */

/*  grEndMfmaIndex:0, lwStartMfmaIndex:25, lwEndMfmaIndex:25  */
/*  numMfmaForLR:4, barrierMfmaIndex:27 */
/*  mfmaIndex:0  */
s_waitcnt lgkmcnt(0)                               // lgkmcnt=0 vmcnt=-1wait for prior local read local write old=0, new=0 newLW=0 newLR=0
/* pack scheduling: packAIdx:2, packBIdx:2 */
v_or_b32 v[vgprValuA_X0_I0+0], v[vgprValuA_X0_I0+0], v211 // pack two half Vgpr to one Vgpr
v_or_b32 v[vgprValuA_X0_I0+1], v[vgprValuA_X0_I0+1], v212 // pack two half Vgpr to one Vgpr
v_or_b32 v[vgprValuB_X0_I0+0], v[vgprValuB_X0_I0+0], v215 // pack two half Vgpr to one Vgpr
v_or_b32 v[vgprValuB_X0_I0+1], v[vgprValuB_X0_I0+1], v216 // pack two half Vgpr to one Vgpr
v_or_b32 v[vgprValuA_X0_I0+2], v[vgprValuA_X0_I0+2], v213 // pack two half Vgpr to one Vgpr
v_or_b32 v[vgprValuA_X0_I0+3], v[vgprValuA_X0_I0+3], v214 // pack two half Vgpr to one Vgpr
v_mfma_f32_32x32x8bf16_1k v[0+0:15+0], v[vgprValuB_X0_I0+0+0+0:vgprValuB_X0_I0+0+0+0+1], v[vgprValuA_X0_I0+0+0+0:vgprValuA_X0_I0+0+0+0+1], v[0:15]
/*  mfmaIndex:1  */
_ds_load_u16 v[vgprValuA_X1_I0+0], v[vgprLocalReadAddrA] offset:2048 // L -> Reg lro=1024 swapByteOffset=0 ti=128 vIdx=0 rIdx=0 oIdx=0 buffer=1 iui=0
_ds_load_u16_d16_hi v223, v[vgprLocalReadAddrA] offset:2304 // L -> Reg lro=1024 swapByteOffset=0 ti=128 vIdx=0 rIdx=1 oIdx=0 buffer=1 iui=0
_ds_load_u16 v[vgprValuA_X1_I0+1], v[vgprLocalReadAddrA] offset:2560 // L -> Reg lro=1024 swapByteOffset=0 ti=128 vIdx=0 rIdx=2 oIdx=0 buffer=1 iui=0
_ds_load_u16_d16_hi v224, v[vgprLocalReadAddrA] offset:2816 // L -> Reg lro=1024 swapByteOffset=0 ti=128 vIdx=0 rIdx=3 oIdx=0 buffer=1 iui=0
_ds_load_u16 v[vgprValuB_X1_I0+0], v[vgprLocalReadAddrB] offset:4096 // L -> Reg lro=2048 swapByteOffset=0 ti=128 vIdx=0 rIdx=0 oIdx=0 buffer=1 iui=0
_ds_load_u16_d16_hi v227, v[vgprLocalReadAddrB] offset:4608 // L -> Reg lro=2048 swapByteOffset=0 ti=128 vIdx=0 rIdx=1 oIdx=0 buffer=1 iui=0
/* pack scheduling: packAIdx:4, packBIdx:2 */
v_or_b32 v[vgprValuB_X0_I0+2], v[vgprValuB_X0_I0+2], v217 // pack two half Vgpr to one Vgpr
v_or_b32 v[vgprValuB_X0_I0+3], v[vgprValuB_X0_I0+3], v218 // pack two half Vgpr to one Vgpr
	;; [unrolled: 1-line block ×4, first 2 shown]
v_mfma_f32_32x32x8bf16_1k v[16+0:31+0], v[vgprValuB_X0_I0+0+0+0:vgprValuB_X0_I0+0+0+0+1], v[vgprValuA_X0_I0+2+0+0:vgprValuA_X0_I0+2+0+0+1], v[16:31]
/*  mfmaIndex:2  */
_ds_load_u16 v[vgprValuB_X1_I0+1], v[vgprLocalReadAddrB] offset:5120 // L -> Reg lro=2048 swapByteOffset=0 ti=128 vIdx=0 rIdx=2 oIdx=0 buffer=1 iui=0
_ds_load_u16_d16_hi v228, v[vgprLocalReadAddrB] offset:5632 // L -> Reg lro=2048 swapByteOffset=0 ti=128 vIdx=0 rIdx=3 oIdx=0 buffer=1 iui=0
_ds_load_u16 v[vgprValuA_X1_I0+2], v[vgprLocalReadAddrA] offset:2050 // L -> Reg lro=1024 swapByteOffset=0 ti=128 vIdx=0 rIdx=0 oIdx=0 buffer=1 iui=0
_ds_load_u16_d16_hi v225, v[vgprLocalReadAddrA] offset:2306 // L -> Reg lro=1024 swapByteOffset=0 ti=128 vIdx=0 rIdx=1 oIdx=0 buffer=1 iui=0
_ds_load_u16 v[vgprValuA_X1_I0+3], v[vgprLocalReadAddrA] offset:2562 // L -> Reg lro=1024 swapByteOffset=0 ti=128 vIdx=0 rIdx=2 oIdx=0 buffer=1 iui=0
_ds_load_u16_d16_hi v226, v[vgprLocalReadAddrA] offset:2818 // L -> Reg lro=1024 swapByteOffset=0 ti=128 vIdx=0 rIdx=3 oIdx=0 buffer=1 iui=0
/* pack scheduling: packAIdx:4, packBIdx:4 */
v_or_b32 v[vgprValuB_X0_I0+6], v[vgprValuB_X0_I0+6], v221 // pack two half Vgpr to one Vgpr
v_or_b32 v[vgprValuB_X0_I0+7], v[vgprValuB_X0_I0+7], v222 // pack two half Vgpr to one Vgpr
v_mfma_f32_32x32x8bf16_1k v[48+0:63+0], v[vgprValuB_X0_I0+2+0+0:vgprValuB_X0_I0+2+0+0+1], v[vgprValuA_X0_I0+2+0+0:vgprValuA_X0_I0+2+0+0+1], v[48:63]
/*  mfmaIndex:3  */
_ds_load_u16 v[vgprValuB_X1_I0+2], v[vgprLocalReadAddrB] offset:4098 // L -> Reg lro=2048 swapByteOffset=0 ti=128 vIdx=0 rIdx=0 oIdx=0 buffer=1 iui=0
_ds_load_u16_d16_hi v229, v[vgprLocalReadAddrB] offset:4610 // L -> Reg lro=2048 swapByteOffset=0 ti=128 vIdx=0 rIdx=1 oIdx=0 buffer=1 iui=0
_ds_load_u16 v[vgprValuB_X1_I0+3], v[vgprLocalReadAddrB] offset:5122 // L -> Reg lro=2048 swapByteOffset=0 ti=128 vIdx=0 rIdx=2 oIdx=0 buffer=1 iui=0
_ds_load_u16_d16_hi v230, v[vgprLocalReadAddrB] offset:5634 // L -> Reg lro=2048 swapByteOffset=0 ti=128 vIdx=0 rIdx=3 oIdx=0 buffer=1 iui=0
_ds_load_u16 v[vgprValuB_X1_I0+4], v[vgprLocalReadAddrB] offset:4352 // L -> Reg lro=2048 swapByteOffset=0 ti=128 vIdx=1 rIdx=0 oIdx=0 buffer=1 iui=0
_ds_load_u16_d16_hi v231, v[vgprLocalReadAddrB] offset:4864 // L -> Reg lro=2048 swapByteOffset=0 ti=128 vIdx=1 rIdx=1 oIdx=0 buffer=1 iui=0
v_mfma_f32_32x32x8bf16_1k v[32+0:47+0], v[vgprValuB_X0_I0+2+0+0:vgprValuB_X0_I0+2+0+0+1], v[vgprValuA_X0_I0+0+0+0:vgprValuA_X0_I0+0+0+0+1], v[32:47]
/*  mfmaIndex:4  */
_ds_load_u16 v[vgprValuB_X1_I0+5], v[vgprLocalReadAddrB] offset:5376 // L -> Reg lro=2048 swapByteOffset=0 ti=128 vIdx=1 rIdx=2 oIdx=0 buffer=1 iui=0
_ds_load_u16_d16_hi v232, v[vgprLocalReadAddrB] offset:5888 // L -> Reg lro=2048 swapByteOffset=0 ti=128 vIdx=1 rIdx=3 oIdx=0 buffer=1 iui=0
_ds_load_u16 v[vgprValuB_X1_I0+6], v[vgprLocalReadAddrB] offset:4354 // L -> Reg lro=2048 swapByteOffset=0 ti=128 vIdx=1 rIdx=0 oIdx=0 buffer=1 iui=0
_ds_load_u16_d16_hi v233, v[vgprLocalReadAddrB] offset:4866 // L -> Reg lro=2048 swapByteOffset=0 ti=128 vIdx=1 rIdx=1 oIdx=0 buffer=1 iui=0
	;; [unrolled: 2-line block ×3, first 2 shown]
/* localReadsVacancy: latencyLeft 1 */
v_mfma_f32_32x32x8bf16_1k v[64+0:79+0], v[vgprValuB_X0_I0+4+0+0:vgprValuB_X0_I0+4+0+0+1], v[vgprValuA_X0_I0+0+0+0:vgprValuA_X0_I0+0+0+0+1], v[64:79]
/*  mfmaIndex:5  */
/* localReadsVacancy: latencyLeft 13 */
_ds_load_u16 v[vgprValuA_X2_I0+0], v[vgprLocalReadAddrA] offset:4096 // L -> Reg lro=2048 swapByteOffset=0 ti=128 vIdx=0 rIdx=0 oIdx=0 buffer=2 iui=0
_ds_load_u16 v[vgprValuA_X2_I0+1], v[vgprLocalReadAddrA] offset:4608 // L -> Reg lro=2048 swapByteOffset=0 ti=128 vIdx=0 rIdx=2 oIdx=0 buffer=2 iui=0
_ds_load_u16 v[vgprValuB_X2_I0+0], v[vgprLocalReadAddrB] offset:8192 // L -> Reg lro=4096 swapByteOffset=0 ti=128 vIdx=0 rIdx=0 oIdx=0 buffer=2 iui=0
_ds_load_u16 v[vgprValuB_X2_I0+1], v[vgprLocalReadAddrB] offset:9216 // L -> Reg lro=4096 swapByteOffset=0 ti=128 vIdx=0 rIdx=2 oIdx=0 buffer=2 iui=0
_ds_load_u16 v[vgprValuA_X2_I0+2], v[vgprLocalReadAddrA] offset:4098 // L -> Reg lro=2048 swapByteOffset=0 ti=128 vIdx=0 rIdx=0 oIdx=0 buffer=2 iui=0
_ds_load_u16 v[vgprValuA_X2_I0+3], v[vgprLocalReadAddrA] offset:4610 // L -> Reg lro=2048 swapByteOffset=0 ti=128 vIdx=0 rIdx=2 oIdx=0 buffer=2 iui=0
v_mfma_f32_32x32x8bf16_1k v[80+0:95+0], v[vgprValuB_X0_I0+4+0+0:vgprValuB_X0_I0+4+0+0+1], v[vgprValuA_X0_I0+2+0+0:vgprValuA_X0_I0+2+0+0+1], v[80:95]
/*  mfmaIndex:6  */
/* localReadsVacancy: latencyLeft 13 */
_ds_load_u16 v[vgprValuB_X2_I0+2], v[vgprLocalReadAddrB] offset:8194 // L -> Reg lro=4096 swapByteOffset=0 ti=128 vIdx=0 rIdx=0 oIdx=0 buffer=2 iui=0
_ds_load_u16 v[vgprValuB_X2_I0+3], v[vgprLocalReadAddrB] offset:9218 // L -> Reg lro=4096 swapByteOffset=0 ti=128 vIdx=0 rIdx=2 oIdx=0 buffer=2 iui=0
	;; [unrolled: 1-line block ×6, first 2 shown]
v_mfma_f32_32x32x8bf16_1k v[112+0:127+0], v[vgprValuB_X0_I0+6+0+0:vgprValuB_X0_I0+6+0+0+1], v[vgprValuA_X0_I0+2+0+0:vgprValuA_X0_I0+2+0+0+1], v[112:127]
/*  mfmaIndex:7  */
/* localReadsVacancy: latencyLeft 13 */
_ds_load_u16 v[vgprValuA_X3_I0+0], v[vgprLocalReadAddrA] offset:6144 // L -> Reg lro=3072 swapByteOffset=0 ti=128 vIdx=0 rIdx=0 oIdx=0 buffer=3 iui=0
_ds_load_u16 v[vgprValuA_X3_I0+1], v[vgprLocalReadAddrA] offset:6656 // L -> Reg lro=3072 swapByteOffset=0 ti=128 vIdx=0 rIdx=2 oIdx=0 buffer=3 iui=0
_ds_load_u16 v[vgprValuB_X3_I0+0], v[vgprLocalReadAddrB] offset:12288 // L -> Reg lro=6144 swapByteOffset=0 ti=128 vIdx=0 rIdx=0 oIdx=0 buffer=3 iui=0
_ds_load_u16 v[vgprValuB_X3_I0+1], v[vgprLocalReadAddrB] offset:13312 // L -> Reg lro=6144 swapByteOffset=0 ti=128 vIdx=0 rIdx=2 oIdx=0 buffer=3 iui=0
_ds_load_u16 v[vgprValuA_X3_I0+2], v[vgprLocalReadAddrA] offset:6146 // L -> Reg lro=3072 swapByteOffset=0 ti=128 vIdx=0 rIdx=0 oIdx=0 buffer=3 iui=0
_ds_load_u16 v[vgprValuA_X3_I0+3], v[vgprLocalReadAddrA] offset:6658 // L -> Reg lro=3072 swapByteOffset=0 ti=128 vIdx=0 rIdx=2 oIdx=0 buffer=3 iui=0
v_mfma_f32_32x32x8bf16_1k v[96+0:111+0], v[vgprValuB_X0_I0+6+0+0:vgprValuB_X0_I0+6+0+0+1], v[vgprValuA_X0_I0+0+0+0:vgprValuA_X0_I0+0+0+0+1], v[96:111]
/* numPrefetchIter=0 */
/* dataAtIterA=-1 numReadsIterA=1 skipReadsIterA=1 readsPerIterA=8 */
/* dataAtIterB=-1 numReadsIterB=1 skipReadsIterB=1 readsPerIterB=16 */


/* iter 1 (last unrolled loop) */

/*  grEndMfmaIndex:0, lwStartMfmaIndex:25, lwEndMfmaIndex:25  */
/*  numMfmaForLR:4, barrierMfmaIndex:27 */
/*  mfmaIndex:8  */
_ds_load_u16_d16_hi v211, v[vgprLocalReadAddrA] offset:4352 // L -> Reg lro=2048 swapByteOffset=0 ti=128 vIdx=0 rIdx=1 oIdx=0 buffer=2 iui=0
_ds_load_u16_d16_hi v212, v[vgprLocalReadAddrA] offset:4864 // L -> Reg lro=2048 swapByteOffset=0 ti=128 vIdx=0 rIdx=3 oIdx=0 buffer=2 iui=0
_ds_load_u16_d16_hi v215, v[vgprLocalReadAddrB] offset:8704 // L -> Reg lro=4096 swapByteOffset=0 ti=128 vIdx=0 rIdx=1 oIdx=0 buffer=2 iui=0
_ds_load_u16_d16_hi v216, v[vgprLocalReadAddrB] offset:9728 // L -> Reg lro=4096 swapByteOffset=0 ti=128 vIdx=0 rIdx=3 oIdx=0 buffer=2 iui=0
_ds_load_u16_d16_hi v213, v[vgprLocalReadAddrA] offset:4354 // L -> Reg lro=2048 swapByteOffset=0 ti=128 vIdx=0 rIdx=1 oIdx=0 buffer=2 iui=0
_ds_load_u16_d16_hi v214, v[vgprLocalReadAddrA] offset:4866 // L -> Reg lro=2048 swapByteOffset=0 ti=128 vIdx=0 rIdx=3 oIdx=0 buffer=2 iui=0
s_waitcnt lgkmcnt(15)                              // lgkmcnt=0 vmcnt=-1wait for prior local read local write old=12, new=18 newLW=0 newLR=6
/* pack scheduling: packAIdx:2, packBIdx:2 */
v_or_b32 v[vgprValuA_X1_I0+0], v[vgprValuA_X1_I0+0], v223 // pack two half Vgpr to one Vgpr
v_or_b32 v[vgprValuA_X1_I0+1], v[vgprValuA_X1_I0+1], v224 // pack two half Vgpr to one Vgpr
v_or_b32 v[vgprValuB_X1_I0+0], v[vgprValuB_X1_I0+0], v227 // pack two half Vgpr to one Vgpr
v_or_b32 v[vgprValuB_X1_I0+1], v[vgprValuB_X1_I0+1], v228 // pack two half Vgpr to one Vgpr
v_or_b32 v[vgprValuA_X1_I0+2], v[vgprValuA_X1_I0+2], v225 // pack two half Vgpr to one Vgpr
v_or_b32 v[vgprValuA_X1_I0+3], v[vgprValuA_X1_I0+3], v226 // pack two half Vgpr to one Vgpr
v_mfma_f32_32x32x8bf16_1k v[0+0:15+0], v[vgprValuB_X1_I0+0+0+0:vgprValuB_X1_I0+0+0+0+1], v[vgprValuA_X1_I0+0+0+0:vgprValuA_X1_I0+0+0+0+1], v[0:15]
/*  mfmaIndex:9  */
_ds_load_u16_d16_hi v217, v[vgprLocalReadAddrB] offset:8706 // L -> Reg lro=4096 swapByteOffset=0 ti=128 vIdx=0 rIdx=1 oIdx=0 buffer=2 iui=0
_ds_load_u16_d16_hi v218, v[vgprLocalReadAddrB] offset:9730 // L -> Reg lro=4096 swapByteOffset=0 ti=128 vIdx=0 rIdx=3 oIdx=0 buffer=2 iui=0
	;; [unrolled: 1-line block ×6, first 2 shown]
/* localReadsVacancy: latencyLeft 1 */
/* pack scheduling: packAIdx:4, packBIdx:2 */
v_or_b32 v[vgprValuB_X1_I0+2], v[vgprValuB_X1_I0+2], v229 // pack two half Vgpr to one Vgpr
v_or_b32 v[vgprValuB_X1_I0+3], v[vgprValuB_X1_I0+3], v230 // pack two half Vgpr to one Vgpr
v_or_b32 v[vgprValuB_X1_I0+4], v[vgprValuB_X1_I0+4], v231 // pack two half Vgpr to one Vgpr
v_or_b32 v[vgprValuB_X1_I0+5], v[vgprValuB_X1_I0+5], v232 // pack two half Vgpr to one Vgpr
v_mfma_f32_32x32x8bf16_1k v[16+0:31+0], v[vgprValuB_X1_I0+0+0+0:vgprValuB_X1_I0+0+0+0+1], v[vgprValuA_X1_I0+2+0+0:vgprValuA_X1_I0+2+0+0+1], v[16:31]
/*  mfmaIndex:10  */
/* localReadsVacancy: latencyLeft 13 */
_ds_load_u16 v[vgprValuB_X3_I0+2], v[vgprLocalReadAddrB] offset:12290 // L -> Reg lro=6144 swapByteOffset=0 ti=128 vIdx=0 rIdx=0 oIdx=0 buffer=3 iui=0
_ds_load_u16 v[vgprValuB_X3_I0+3], v[vgprLocalReadAddrB] offset:13314 // L -> Reg lro=6144 swapByteOffset=0 ti=128 vIdx=0 rIdx=2 oIdx=0 buffer=3 iui=0
_ds_load_u16 v[vgprValuB_X3_I0+4], v[vgprLocalReadAddrB] offset:12544 // L -> Reg lro=6144 swapByteOffset=0 ti=128 vIdx=1 rIdx=0 oIdx=0 buffer=3 iui=0
_ds_load_u16 v[vgprValuB_X3_I0+5], v[vgprLocalReadAddrB] offset:13568 // L -> Reg lro=6144 swapByteOffset=0 ti=128 vIdx=1 rIdx=2 oIdx=0 buffer=3 iui=0
_ds_load_u16 v[vgprValuB_X3_I0+6], v[vgprLocalReadAddrB] offset:12546 // L -> Reg lro=6144 swapByteOffset=0 ti=128 vIdx=1 rIdx=0 oIdx=0 buffer=3 iui=0
_ds_load_u16 v[vgprValuB_X3_I0+7], v[vgprLocalReadAddrB] offset:13570 // L -> Reg lro=6144 swapByteOffset=0 ti=128 vIdx=1 rIdx=2 oIdx=0 buffer=3 iui=0
/* pack scheduling: packAIdx:4, packBIdx:4 */
v_or_b32 v[vgprValuB_X1_I0+6], v[vgprValuB_X1_I0+6], v233 // pack two half Vgpr to one Vgpr
v_or_b32 v[vgprValuB_X1_I0+7], v[vgprValuB_X1_I0+7], v234 // pack two half Vgpr to one Vgpr
v_mfma_f32_32x32x8bf16_1k v[48+0:63+0], v[vgprValuB_X1_I0+2+0+0:vgprValuB_X1_I0+2+0+0+1], v[vgprValuA_X1_I0+2+0+0:vgprValuA_X1_I0+2+0+0+1], v[48:63]
/*  mfmaIndex:11  */
/* localReadsVacancy: latencyLeft 13 */
v_mfma_f32_32x32x8bf16_1k v[32+0:47+0], v[vgprValuB_X1_I0+2+0+0:vgprValuB_X1_I0+2+0+0+1], v[vgprValuA_X1_I0+0+0+0:vgprValuA_X1_I0+0+0+0+1], v[32:47]
/*  mfmaIndex:12  */
/* localReadsVacancy: latencyLeft 13 */
	;; [unrolled: 3-line block ×5, first 2 shown]
v_mfma_f32_32x32x8bf16_1k v[96+0:111+0], v[vgprValuB_X1_I0+6+0+0:vgprValuB_X1_I0+6+0+0+1], v[vgprValuA_X1_I0+0+0+0:vgprValuA_X1_I0+0+0+0+1], v[96:111]
/* numPrefetchIter=0 */
/* dataAtIterA=0 numReadsIterA=2 skipReadsIterA=1 readsPerIterA=8 */
/* dataAtIterB=0 numReadsIterB=2 skipReadsIterB=1 readsPerIterB=16 */


/* iter 2 (last unrolled loop) */

/*  grEndMfmaIndex:0, lwStartMfmaIndex:25, lwEndMfmaIndex:25  */
/*  numMfmaForLR:4, barrierMfmaIndex:27 */
/*  mfmaIndex:16  */
_ds_load_u16_d16_hi v223, v[vgprLocalReadAddrA] offset:6400 // L -> Reg lro=3072 swapByteOffset=0 ti=128 vIdx=0 rIdx=1 oIdx=0 buffer=3 iui=0
_ds_load_u16_d16_hi v224, v[vgprLocalReadAddrA] offset:6912 // L -> Reg lro=3072 swapByteOffset=0 ti=128 vIdx=0 rIdx=3 oIdx=0 buffer=3 iui=0
_ds_load_u16_d16_hi v227, v[vgprLocalReadAddrB] offset:12800 // L -> Reg lro=6144 swapByteOffset=0 ti=128 vIdx=0 rIdx=1 oIdx=0 buffer=3 iui=0
_ds_load_u16_d16_hi v228, v[vgprLocalReadAddrB] offset:13824 // L -> Reg lro=6144 swapByteOffset=0 ti=128 vIdx=0 rIdx=3 oIdx=0 buffer=3 iui=0
_ds_load_u16_d16_hi v225, v[vgprLocalReadAddrA] offset:6402 // L -> Reg lro=3072 swapByteOffset=0 ti=128 vIdx=0 rIdx=1 oIdx=0 buffer=3 iui=0
_ds_load_u16_d16_hi v226, v[vgprLocalReadAddrA] offset:6914 // L -> Reg lro=3072 swapByteOffset=0 ti=128 vIdx=0 rIdx=3 oIdx=0 buffer=3 iui=0
s_waitcnt lgkmcnt(12)                              // lgkmcnt=0 vmcnt=-1wait for prior local read local write old=6, new=12 newLW=0 newLR=6
/* pack scheduling: packAIdx:2, packBIdx:2 */
v_or_b32 v[vgprValuA_X2_I0+0], v[vgprValuA_X2_I0+0], v211 // pack two half Vgpr to one Vgpr
v_or_b32 v[vgprValuA_X2_I0+1], v[vgprValuA_X2_I0+1], v212 // pack two half Vgpr to one Vgpr
v_or_b32 v[vgprValuB_X2_I0+0], v[vgprValuB_X2_I0+0], v215 // pack two half Vgpr to one Vgpr
v_or_b32 v[vgprValuB_X2_I0+1], v[vgprValuB_X2_I0+1], v216 // pack two half Vgpr to one Vgpr
v_or_b32 v[vgprValuA_X2_I0+2], v[vgprValuA_X2_I0+2], v213 // pack two half Vgpr to one Vgpr
v_or_b32 v[vgprValuA_X2_I0+3], v[vgprValuA_X2_I0+3], v214 // pack two half Vgpr to one Vgpr
v_mfma_f32_32x32x8bf16_1k v[0+0:15+0], v[vgprValuB_X2_I0+0+0+0:vgprValuB_X2_I0+0+0+0+1], v[vgprValuA_X2_I0+0+0+0:vgprValuA_X2_I0+0+0+0+1], v[0:15]
/*  mfmaIndex:17  */
_ds_load_u16_d16_hi v229, v[vgprLocalReadAddrB] offset:12802 // L -> Reg lro=6144 swapByteOffset=0 ti=128 vIdx=0 rIdx=1 oIdx=0 buffer=3 iui=0
_ds_load_u16_d16_hi v230, v[vgprLocalReadAddrB] offset:13826 // L -> Reg lro=6144 swapByteOffset=0 ti=128 vIdx=0 rIdx=3 oIdx=0 buffer=3 iui=0
	;; [unrolled: 1-line block ×6, first 2 shown]
/* localReadsVacancy: latencyLeft 1 */
/* pack scheduling: packAIdx:4, packBIdx:2 */
v_or_b32 v[vgprValuB_X2_I0+2], v[vgprValuB_X2_I0+2], v217 // pack two half Vgpr to one Vgpr
v_or_b32 v[vgprValuB_X2_I0+3], v[vgprValuB_X2_I0+3], v218 // pack two half Vgpr to one Vgpr
	;; [unrolled: 1-line block ×4, first 2 shown]
v_mfma_f32_32x32x8bf16_1k v[16+0:31+0], v[vgprValuB_X2_I0+0+0+0:vgprValuB_X2_I0+0+0+0+1], v[vgprValuA_X2_I0+2+0+0:vgprValuA_X2_I0+2+0+0+1], v[16:31]
/*  mfmaIndex:18  */
/* localReadsVacancy: latencyLeft 13 */
/* pack scheduling: packAIdx:4, packBIdx:4 */
v_or_b32 v[vgprValuB_X2_I0+6], v[vgprValuB_X2_I0+6], v221 // pack two half Vgpr to one Vgpr
v_or_b32 v[vgprValuB_X2_I0+7], v[vgprValuB_X2_I0+7], v222 // pack two half Vgpr to one Vgpr
v_mfma_f32_32x32x8bf16_1k v[48+0:63+0], v[vgprValuB_X2_I0+2+0+0:vgprValuB_X2_I0+2+0+0+1], v[vgprValuA_X2_I0+2+0+0:vgprValuA_X2_I0+2+0+0+1], v[48:63]
/*  mfmaIndex:19  */
/* localReadsVacancy: latencyLeft 13 */
v_mfma_f32_32x32x8bf16_1k v[32+0:47+0], v[vgprValuB_X2_I0+2+0+0:vgprValuB_X2_I0+2+0+0+1], v[vgprValuA_X2_I0+0+0+0:vgprValuA_X2_I0+0+0+0+1], v[32:47]
/*  mfmaIndex:20  */
/* localReadsVacancy: latencyLeft 13 */
	;; [unrolled: 3-line block ×5, first 2 shown]
v_mfma_f32_32x32x8bf16_1k v[96+0:111+0], v[vgprValuB_X2_I0+6+0+0:vgprValuB_X2_I0+6+0+0+1], v[vgprValuA_X2_I0+0+0+0:vgprValuA_X2_I0+0+0+0+1], v[96:111]
/* numPrefetchIter=0 */
/* dataAtIterA=1 numReadsIterA=3 skipReadsIterA=1 readsPerIterA=8 */
/* dataAtIterB=1 numReadsIterB=3 skipReadsIterB=1 readsPerIterB=16 */


/* iter 3 (last unrolled loop) */

/*  grEndMfmaIndex:0, lwStartMfmaIndex:25, lwEndMfmaIndex:25  */
/*  numMfmaForLR:4, barrierMfmaIndex:27 */
/*  mfmaIndex:24  */
/* 1 LDS buffer: read-sync-write */
s_waitcnt lgkmcnt(0)                               // 
s_barrier                                          // 
s_waitcnt lgkmcnt(0)                               // lgkmcnt=0 vmcnt=-1wait for prior local read local write old=0, new=0 newLW=0 newLR=0
/* pack scheduling: packAIdx:2, packBIdx:2 */
v_or_b32 v[vgprValuA_X3_I0+0], v[vgprValuA_X3_I0+0], v223 // pack two half Vgpr to one Vgpr
v_or_b32 v[vgprValuA_X3_I0+1], v[vgprValuA_X3_I0+1], v224 // pack two half Vgpr to one Vgpr
v_or_b32 v[vgprValuB_X3_I0+0], v[vgprValuB_X3_I0+0], v227 // pack two half Vgpr to one Vgpr
v_or_b32 v[vgprValuB_X3_I0+1], v[vgprValuB_X3_I0+1], v228 // pack two half Vgpr to one Vgpr
v_or_b32 v[vgprValuA_X3_I0+2], v[vgprValuA_X3_I0+2], v225 // pack two half Vgpr to one Vgpr
v_or_b32 v[vgprValuA_X3_I0+3], v[vgprValuA_X3_I0+3], v226 // pack two half Vgpr to one Vgpr
v_mfma_f32_32x32x8bf16_1k v[0+0:15+0], v[vgprValuB_X3_I0+0+0+0:vgprValuB_X3_I0+0+0+0+1], v[vgprValuA_X3_I0+0+0+0:vgprValuA_X3_I0+0+0+0+1], v[0:15]
/*  mfmaIndex:25  */
/* pack scheduling: packAIdx:4, packBIdx:2 */
v_or_b32 v[vgprValuB_X3_I0+2], v[vgprValuB_X3_I0+2], v229 // pack two half Vgpr to one Vgpr
v_or_b32 v[vgprValuB_X3_I0+3], v[vgprValuB_X3_I0+3], v230 // pack two half Vgpr to one Vgpr
	;; [unrolled: 1-line block ×4, first 2 shown]
v_mfma_f32_32x32x8bf16_1k v[16+0:31+0], v[vgprValuB_X3_I0+0+0+0:vgprValuB_X3_I0+0+0+0+1], v[vgprValuA_X3_I0+2+0+0:vgprValuA_X3_I0+2+0+0+1], v[16:31]
/*  mfmaIndex:26  */
/* pack scheduling: packAIdx:4, packBIdx:4 */
v_or_b32 v[vgprValuB_X3_I0+6], v[vgprValuB_X3_I0+6], v233 // pack two half Vgpr to one Vgpr
v_or_b32 v[vgprValuB_X3_I0+7], v[vgprValuB_X3_I0+7], v234 // pack two half Vgpr to one Vgpr
v_mfma_f32_32x32x8bf16_1k v[48+0:63+0], v[vgprValuB_X3_I0+2+0+0:vgprValuB_X3_I0+2+0+0+1], v[vgprValuA_X3_I0+2+0+0:vgprValuA_X3_I0+2+0+0+1], v[48:63]
/*  mfmaIndex:27  */
v_mfma_f32_32x32x8bf16_1k v[32+0:47+0], v[vgprValuB_X3_I0+2+0+0:vgprValuB_X3_I0+2+0+0+1], v[vgprValuA_X3_I0+0+0+0:vgprValuA_X3_I0+0+0+0+1], v[32:47]
/*  mfmaIndex:28  */
	;; [unrolled: 2-line block ×5, first 2 shown]
v_mfma_f32_32x32x8bf16_1k v[96+0:111+0], v[vgprValuB_X3_I0+6+0+0:vgprValuB_X3_I0+6+0+0+1], v[vgprValuA_X3_I0+0+0+0:vgprValuA_X3_I0+0+0+0+1], v[96:111]
/* numPrefetchIter=0 */
/* dataAtIterA=2 numReadsIterA=3 skipReadsIterA=0 readsPerIterA=8 */
/* dataAtIterB=2 numReadsIterB=3 skipReadsIterB=0 readsPerIterB=16 */

PrefetchGlobalLastIterEnd_5:


/******************************************/
/* Tail Loop                              */
/******************************************/


/* local write reset offsets a */


	;; [unrolled: 1-line block ×4, first 2 shown]
/* local write reset offsets b */


	;; [unrolled: 1-line block ×4, first 2 shown]
//numIterL = (((sizeL % LOCAL_DEPTHU) + LOCAL_SPLITU - 1) / LOCAL_SPLITU)
s_and_b32 s[sgprLoopCounterL], 31, s[sgprSizesSum+0] // s[sgprLoopCounterL] = s[sgprSizesSum+0] % 32
s_cmp_eq_u32 s[sgprLoopCounterL], 0x0              // numIterL == 0
s_cbranch_scc1 SkipTailLoopL_8                     // skip to end of tail loop b/c numIter==0
s_mov_b32 s[sgprOrigLoopCounter], 0                // repurpose to count each localRead increment


/* Update M0 for DTLDS */



/* global read a */

/* g2l=0, load component 0 */
_buffer_load_d16_b16 v[vgprG2LA+0+0], v[vgprGlobalReadOffsetA+0], s[sgprSrdA:sgprSrdA+3], 0, offen offset:0 // load one buffer value
/* g2l=0, load component 1 */
_buffer_load_d16_hi_b16 v211, v[vgprGlobalReadOffsetA+0], s[sgprSrdA:sgprSrdA+3], 0, offen offset:2 // load one buffer value
s_waitcnt vmcnt(0)
v_or_b32 v[vgprG2LA+0+0], v[vgprG2LA+0+0], v211 // HasEccHalf: pack
/* g2l=0, load component 2 */
_buffer_load_d16_b16 v[vgprG2LA+0+1], v[vgprGlobalReadOffsetA+0], s[sgprSrdA:sgprSrdA+3], 0, offen offset:4 // load one buffer value
/* g2l=0, load component 3 */
_buffer_load_d16_hi_b16 v211, v[vgprGlobalReadOffsetA+0], s[sgprSrdA:sgprSrdA+3], 0, offen offset:6 // load one buffer value
s_waitcnt vmcnt(0)
v_or_b32 v[vgprG2LA+0+1], v[vgprG2LA+0+1], v211 // HasEccHalf: pack
	;; [unrolled: 6-line block ×8, first 2 shown]


/* Update M0 for DTLDS */


	;; [unrolled: 1-line block ×3, first 2 shown]
/* global read b */

/* g2l=0, load component 0 */
_buffer_load_d16_b16 v[vgprG2LB+0+0], v[vgprGlobalReadOffsetB+0], s[sgprSrdB:sgprSrdB+3], 0, offen offset:0 // load one buffer value
/* g2l=0, load component 1 */
_buffer_load_d16_hi_b16 v211, v[vgprGlobalReadOffsetB+0], s[sgprSrdB:sgprSrdB+3], 0, offen offset:2 // load one buffer value
s_waitcnt vmcnt(0)
v_or_b32 v[vgprG2LB+0+0], v[vgprG2LB+0+0], v211 // HasEccHalf: pack
/* g2l=0, load component 2 */
_buffer_load_d16_b16 v[vgprG2LB+0+1], v[vgprGlobalReadOffsetB+0], s[sgprSrdB:sgprSrdB+3], 0, offen offset:4 // load one buffer value
/* g2l=0, load component 3 */
_buffer_load_d16_hi_b16 v211, v[vgprGlobalReadOffsetB+0], s[sgprSrdB:sgprSrdB+3], 0, offen offset:6 // load one buffer value
s_waitcnt vmcnt(0)
v_or_b32 v[vgprG2LB+0+1], v[vgprG2LB+0+1], v211 // HasEccHalf: pack
	;; [unrolled: 6-line block ×16, first 2 shown]

s_waitcnt vmcnt(0)                                 // lgkmcnt=-1 vmcnt=02wait for global read

s_waitcnt lgkmcnt(0) & vmcnt(0)                    // force waitcnt0
s_barrier //


/* Done global A/B reads */




/* local write a */

_ds_store_b128 v[vgprLocalWriteAddrA], v[vgprG2LA+0:vgprG2LA+0+3] offset:0 // lwoA_0_0_0_0 = (0*LSCA) + (0*LSPA)(*MT0I+PAD) = 0
_ds_store_b128 v[vgprLocalWriteAddrA], v[vgprG2LA+4:vgprG2LA+4+3] offset:4096 // lwoA_0_0_1_0 = (0*LSCA) + (1*LSPA)(*MT0I+PAD) = 4096


/* local write b */

_ds_store_b128 v[vgprLocalWriteAddrB], v[vgprG2LB+0:vgprG2LB+0+3] offset:0 // lwoB_0_0_0_0 = (0*LSCB) + (0*LSPB)(*MT1J+PAD) = 0
_ds_store_b128 v[vgprLocalWriteAddrB], v[vgprG2LB+4:vgprG2LB+4+3] offset:4096 // lwoB_0_0_1_0 = (0*LSCB) + (1*LSPB)(*MT1J+PAD) = 4096
_ds_store_b128 v[vgprLocalWriteAddrB], v[vgprG2LB+8:vgprG2LB+8+3] offset:8192 // lwoB_0_0_2_0 = (0*LSCB) + (2*LSPB)(*MT1J+PAD) = 8192
_ds_store_b128 v[vgprLocalWriteAddrB], v[vgprG2LB+12:vgprG2LB+12+3] offset:12288 // lwoB_0_0_3_0 = (0*LSCB) + (3*LSPB)(*MT1J+PAD) = 12288


/* Recalc local read offsets */


s_waitcnt lgkmcnt(0)                               // lgkmcnt=0 vmcnt=-15wait for local write

s_waitcnt lgkmcnt(0) & vmcnt(0)                    // force waitcnt0
s_barrier //


/* local read reset offsets a */


	;; [unrolled: 1-line block ×3, first 2 shown]
/* local read reset offsets b */



/* local read init pointers a */


/* localReadInitPointers */


/* local read init pointers b */


/* localReadInitPointers */


/* tail loop: macs */

TailLoopBeginL_6:


/* local read a */

_ds_load_u16 v[vgprValuA_X0_I0+0], v[vgprLocalReadAddrA] offset:0 // L -> Reg lro=0 swapByteOffset=0 ti=128 vIdx=0 rIdx=0 oIdx=0 buffer=0 iui=0
_ds_load_u16_d16_hi v211, v[vgprLocalReadAddrA] offset:256 // L -> Reg lro=0 swapByteOffset=0 ti=128 vIdx=0 rIdx=1 oIdx=0 buffer=0 iui=0
_ds_load_u16 v[vgprValuA_X0_I0+1], v[vgprLocalReadAddrA] offset:512 // L -> Reg lro=0 swapByteOffset=0 ti=128 vIdx=0 rIdx=2 oIdx=0 buffer=0 iui=0
_ds_load_u16_d16_hi v212, v[vgprLocalReadAddrA] offset:768 // L -> Reg lro=0 swapByteOffset=0 ti=128 vIdx=0 rIdx=3 oIdx=0 buffer=0 iui=0
	;; [unrolled: 2-line block ×4, first 2 shown]


/* local read b */

_ds_load_u16 v[vgprValuB_X0_I0+0], v[vgprLocalReadAddrB] offset:0 // L -> Reg lro=0 swapByteOffset=0 ti=128 vIdx=0 rIdx=0 oIdx=0 buffer=0 iui=0
_ds_load_u16_d16_hi v215, v[vgprLocalReadAddrB] offset:512 // L -> Reg lro=0 swapByteOffset=0 ti=128 vIdx=0 rIdx=1 oIdx=0 buffer=0 iui=0
_ds_load_u16 v[vgprValuB_X0_I0+1], v[vgprLocalReadAddrB] offset:1024 // L -> Reg lro=0 swapByteOffset=0 ti=128 vIdx=0 rIdx=2 oIdx=0 buffer=0 iui=0
_ds_load_u16_d16_hi v216, v[vgprLocalReadAddrB] offset:1536 // L -> Reg lro=0 swapByteOffset=0 ti=128 vIdx=0 rIdx=3 oIdx=0 buffer=0 iui=0
	;; [unrolled: 2-line block ×8, first 2 shown]


/* local read inc a */

s_mov_b32 s31, 0x800                               // inc
_v_add_co_u32 v[vgprLocalReadAddrA], vcc, s31, v[vgprLocalReadAddrA] // lrA += 2048 (LSU*(MT+PAD)*bpe)


/* local read inc b */

s_mov_b32 s31, 0x1000                              // inc
_v_add_co_u32 v[vgprLocalReadAddrB], vcc, s31, v[vgprLocalReadAddrB] // lrB += 4096 (LSU*(MT+PAD)*bpe)

s_waitcnt lgkmcnt(0)                               // lgkmcnt=0 vmcnt=-14wait for local read

v_or_b32 v[vgprValuA_X0_I0+0], v[vgprValuA_X0_I0+0], v211 // pack two half Vgpr to one Vgpr
v_or_b32 v[vgprValuA_X0_I0+1], v[vgprValuA_X0_I0+1], v212 // pack two half Vgpr to one Vgpr
	;; [unrolled: 1-line block ×4, first 2 shown]
v_or_b32 v[vgprValuB_X0_I0+0], v[vgprValuB_X0_I0+0], v215 // pack two half Vgpr to one Vgpr
v_or_b32 v[vgprValuB_X0_I0+1], v[vgprValuB_X0_I0+1], v216 // pack two half Vgpr to one Vgpr
	;; [unrolled: 1-line block ×8, first 2 shown]

s_nop 1
v_mfma_f32_32x32x8bf16_1k v[0+0:15+0], v[vgprValuB_X0_I0+0+0+0:vgprValuB_X0_I0+0+0+0+1], v[vgprValuA_X0_I0+0+0+0:vgprValuA_X0_I0+0+0+0+1], v[0:15]
v_mfma_f32_32x32x8bf16_1k v[16+0:31+0], v[vgprValuB_X0_I0+0+0+0:vgprValuB_X0_I0+0+0+0+1], v[vgprValuA_X0_I0+2+0+0:vgprValuA_X0_I0+2+0+0+1], v[16:31]
	;; [unrolled: 1-line block ×8, first 2 shown]


/* closeLoop loopL finalLoop=1 tailLoop=1 */
s_sub_i32 s[sgprLoopCounterL], s[sgprLoopCounterL], 0x8 // dec counterL (tailLoop)
s_add_u32 s[sgprOrigLoopCounter], s[sgprOrigLoopCounter], 0x8 // inc counterL
s_cmp_le_i32 s[sgprLoopCounterL], 0x0              // counterL<=0
s_cbranch_scc0 TailLoopBeginL_6                    // restart LoopL
TailLoopEndL_7:

SkipTailLoopL_8:

Summation_End_28:
/* endSummation: add vgpr [128...208) to pool */
.set NumFullBlocks, UNDEF
.set WgmRemainder1, UNDEF
.set MagicNumberWgmRemainder1, UNDEF

/* Mapping of Acc register -> C Vgpr register */

/* Multiply MI out register with Alpha -> C Vgpr register */


/* shift vector components d0 */

v_mov_b32 v129, s[sgprWorkGroup0]                  // 
v_mul_i32_i24 v129, -0x80, v129                    // wg*MT
_v_add_co_u32 v129, vcc, s[sgprSizesFree+0], v129  // wgMT = Size - wg*MT
v_mov_b32 v130, 0x80                               // MT
v_min_u32 v129, v130, v129                         // wgMT = (wgMT < MT) ? wgMT : MT
v_lshrrev_b32 v128, 6, v[vgprSerial]               // v128 = v[vgprSerial] / 64
v_and_b32 v131, 1, v128                            // v131 = v128 % 2
v_lshrrev_b32 v128, 6, v129                        // v128 = v129 / 64
v_and_b32 v132, 1, v128                            // v132 = v128 % 2
v_cmp_eq_u32 s[32:33], v132, v131                  // wave_id == block_belong_to_wave?
v_cndmask_b32 v129, v130, v129, s[32:33]           // wgMT = (wgMT < MT) ? wgMT : MT

/* mbReg: which mb block need to shift, mb(matrixInstCoal(32) * VectorWidth(2)) */
v_lshrrev_b32 v130, 6, v129                        // v130 = v129 / 64
v_lshlrev_b32 v132, 0x0, v131                      // v132 = v131 * 1
_v_sub_u32 v130, v130, v132                        // 

/* gbReg: glvw block id */
v_lshrrev_b32 v132, 3, v129                        // v132 = v129 / 8

/* tgbReg: glvw block id */
v_lshrrev_b32 v128, 0, v[vgprSerial]               // v128 = v[vgprSerial] / 1
v_and_b32 v133, 31, v128                           // v133 = v128 % 32
v_lshlrev_b32 v133, 0x1, v133                      // v133 = v133 * 2
v_lshrrev_b32 v133, 3, v133                        // v133 = v133 / 8
v_lshlrev_b32 v131, 0x3, v131                      // v131 = v131 * 8
_v_add_co_u32 v133, vcc, v131, v133                // tgbReg = (tid_coal * continOut) / GLVW
_v_sub_u32 v132, v132, v133                        // 

/* vwReg: glvw in which vw block? */
v_and_b32 v131, 1, v129                            // permute register between threads
v_lshrrev_b32 v131, 3, v131                        // permute register between threads

/* rReg : reminder of M_size % GlobalLoadVectorWidth */
v_and_b32 v133, 7, v129                            // v133 = v129 % 8
v_cmp_eq_u32 vcc, v133, 0x1                        // wgMT%VW == 1
s_cbranch_vccnz label_0029                         // branch to shift d0 r=1
v_cmp_eq_u32 vcc, v133, 0x2                        // wgMT%VW == 2
s_cbranch_vccnz label_0032                         // branch to shift d0 r=2
v_cmp_eq_u32 vcc, v133, 0x3                        // wgMT%VW == 3
s_cbranch_vccnz label_0035                         // branch to shift d0 r=3
v_cmp_eq_u32 vcc, v133, 0x4                        // wgMT%VW == 4
s_cbranch_vccnz label_0038                         // branch to shift d0 r=4
v_cmp_eq_u32 vcc, v133, 0x5                        // wgMT%VW == 5
s_cbranch_vccnz label_0041                         // branch to shift d0 r=5
v_cmp_eq_u32 vcc, v133, 0x6                        // wgMT%VW == 6
s_cbranch_vccnz label_0044                         // branch to shift d0 r=6
v_cmp_eq_u32 vcc, v133, 0x7                        // wgMT%VW == 7
s_cbranch_vccnz label_0047                         // branch to shift d0 r=7
s_branch label_0050                                // no shifting

/******************************************/
/* shift d0 r=1                           */
/******************************************/
label_0029:
v_cmp_eq_u32 vcc, v130, 0x0                        // 
s_cbranch_vccnz label_0030                         // branch to shift d0 r1 mb0

/******************************************/
/* shift d0 r=2                           */
/******************************************/
label_0032:
v_cmp_eq_u32 vcc, v130, 0x0                        // 
s_cbranch_vccnz label_0033                         // branch to shift d0 r2 mb0

/******************************************/
/* shift d0 r=3                           */
/******************************************/
label_0035:
v_cmp_eq_u32 vcc, v130, 0x0                        // 
s_cbranch_vccnz label_0036                         // branch to shift d0 r3 mb0

/******************************************/
/* shift d0 r=4                           */
/******************************************/
label_0038:
v_cmp_eq_u32 vcc, v130, 0x0                        // 
s_cbranch_vccnz label_0039                         // branch to shift d0 r4 mb0

/******************************************/
/* shift d0 r=5                           */
/******************************************/
label_0041:
v_cmp_eq_u32 vcc, v130, 0x0                        // 
s_cbranch_vccnz label_0042                         // branch to shift d0 r5 mb0

/******************************************/
/* shift d0 r=6                           */
/******************************************/
label_0044:
v_cmp_eq_u32 vcc, v130, 0x0                        // 
s_cbranch_vccnz label_0045                         // branch to shift d0 r6 mb0

/******************************************/
/* shift d0 r=7                           */
/******************************************/
label_0047:
v_cmp_eq_u32 vcc, v130, 0x0                        // 
s_cbranch_vccnz label_0048                         // branch to shift d0 r7 mb0

/******************************************/
/* shift d0 r=1 mb=0                      */
/******************************************/
label_0030: // r1 mb0 
v_cmp_eq_u32 vcc, v131, 0x0                        // 
s_cbranch_vccnz label_0031                         // branch to shift d0 r1 mb0 vw0

/******************************************/
/* shift d0 r=2 mb=0                      */
/******************************************/
label_0033: // r2 mb0 
v_cmp_eq_u32 vcc, v131, 0x0                        // 
s_cbranch_vccnz label_0034                         // branch to shift d0 r2 mb0 vw0

/******************************************/
/* shift d0 r=3 mb=0                      */
/******************************************/
label_0036: // r3 mb0 
v_cmp_eq_u32 vcc, v131, 0x0                        // 
s_cbranch_vccnz label_0037                         // branch to shift d0 r3 mb0 vw0

/******************************************/
/* shift d0 r=4 mb=0                      */
/******************************************/
label_0039: // r4 mb0 
v_cmp_eq_u32 vcc, v131, 0x0                        // 
s_cbranch_vccnz label_0040                         // branch to shift d0 r4 mb0 vw0

/******************************************/
/* shift d0 r=5 mb=0                      */
/******************************************/
label_0042: // r5 mb0 
v_cmp_eq_u32 vcc, v131, 0x0                        // 
s_cbranch_vccnz label_0043                         // branch to shift d0 r5 mb0 vw0

/******************************************/
/* shift d0 r=6 mb=0                      */
/******************************************/
label_0045: // r6 mb0 
v_cmp_eq_u32 vcc, v131, 0x0                        // 
s_cbranch_vccnz label_0046                         // branch to shift d0 r6 mb0 vw0

/******************************************/
/* shift d0 r=7 mb=0                      */
/******************************************/
label_0048: // r7 mb0 
v_cmp_eq_u32 vcc, v131, 0x0                        // 
s_cbranch_vccnz label_0049                         // branch to shift d0 r7 mb0 vw0

/******************************************/
/* shift d0 r=1 mb=0 vw0                  */
/******************************************/
label_0031: // r1 mb0 vw0 
s_mov_b32 s32, 0                                   // 
_v_cmpx_eq_u32 s[32:33], v132, s32                 // is thread in edge glvw region
v_and_b32 v128, 63, v[vgprSerial]                  // permute register between threads
v_lshlrev_b32 v128, 2, v128                        // permute register between threads
v_mov_b32 v133, v16                                // glvw 1 mb 0 tt1 0 r 0
ds_bpermute_b32 v133, v128, v133, offset:12        // permute edge values
s_waitcnt 0                                        // wait for swizzle operation
v_mov_b32 v0, v133                                 // 
v_mov_b32 v133, v48                                // glvw 1 mb 0 tt1 1 r 0
ds_bpermute_b32 v133, v128, v133, offset:12        // permute edge values
s_waitcnt 0                                        // wait for swizzle operation
v_mov_b32 v32, v133                                // 
v_mov_b32 v133, v17                                // glvw 1 mb 0 tt1 2 r 0
ds_bpermute_b32 v133, v128, v133, offset:12        // permute edge values
s_waitcnt 0                                        // wait for swizzle operation
v_mov_b32 v1, v133                                 // 
v_mov_b32 v133, v49                                // glvw 1 mb 0 tt1 3 r 0
ds_bpermute_b32 v133, v128, v133, offset:12        // permute edge values
s_waitcnt 0                                        // wait for swizzle operation
v_mov_b32 v33, v133                                // 
	;; [unrolled: 8-line block ×10, first 2 shown]
v_mov_b32 v133, v26                                // glvw 1 mb 0 tt1 20 r 0
ds_bpermute_b32 v133, v128, v133, offset:12        // permute edge values
s_waitcnt 0                                        // wait for swizzle operation
v_mov_b32 v10, v133                                // 
v_mov_b32 v133, v58                                // glvw 1 mb 0 tt1 21 r 0
ds_bpermute_b32 v133, v128, v133, offset:12        // permute edge values
s_waitcnt 0                                        // wait for swizzle operation
v_mov_b32 v42, v133                                // 
v_mov_b32 v133, v27                                // glvw 1 mb 0 tt1 22 r 0
ds_bpermute_b32 v133, v128, v133, offset:12        // permute edge values
s_waitcnt 0                                        // wait for swizzle operation
v_mov_b32 v11, v133                                // 
v_mov_b32 v133, v59                                // glvw 1 mb 0 tt1 23 r 0
ds_bpermute_b32 v133, v128, v133, offset:12        // permute edge values
s_waitcnt 0                                        // wait for swizzle operation
v_mov_b32 v43, v133                                // 
v_mov_b32 v133, v28                                // glvw 1 mb 0 tt1 24 r 0
ds_bpermute_b32 v133, v128, v133, offset:12        // permute edge values
s_waitcnt 0                                        // wait for swizzle operation
v_mov_b32 v12, v133                                // 
v_mov_b32 v133, v60                                // glvw 1 mb 0 tt1 25 r 0
ds_bpermute_b32 v133, v128, v133, offset:12        // permute edge values
s_waitcnt 0                                        // wait for swizzle operation
v_mov_b32 v44, v133                                // 
v_mov_b32 v133, v29                                // glvw 1 mb 0 tt1 26 r 0
ds_bpermute_b32 v133, v128, v133, offset:12        // permute edge values
s_waitcnt 0                                        // wait for swizzle operation
v_mov_b32 v13, v133                                // 
v_mov_b32 v133, v61                                // glvw 1 mb 0 tt1 27 r 0
ds_bpermute_b32 v133, v128, v133, offset:12        // permute edge values
s_waitcnt 0                                        // wait for swizzle operation
v_mov_b32 v45, v133                                // 
v_mov_b32 v133, v30                                // glvw 1 mb 0 tt1 28 r 0
ds_bpermute_b32 v133, v128, v133, offset:12        // permute edge values
s_waitcnt 0                                        // wait for swizzle operation
v_mov_b32 v14, v133                                // 
v_mov_b32 v133, v62                                // glvw 1 mb 0 tt1 29 r 0
ds_bpermute_b32 v133, v128, v133, offset:12        // permute edge values
s_waitcnt 0                                        // wait for swizzle operation
v_mov_b32 v46, v133                                // 
v_mov_b32 v133, v31                                // glvw 1 mb 0 tt1 30 r 0
ds_bpermute_b32 v133, v128, v133, offset:12        // permute edge values
s_waitcnt 0                                        // wait for swizzle operation
v_mov_b32 v15, v133                                // 
v_mov_b32 v133, v63                                // glvw 1 mb 0 tt1 31 r 0
ds_bpermute_b32 v133, v128, v133, offset:12        // permute edge values
s_waitcnt 0                                        // wait for swizzle operation
v_mov_b32 v47, v133                                // 
v_mov_b32 v133, v80                                // glvw 1 mb 0 tt1 32 r 0
ds_bpermute_b32 v133, v128, v133, offset:12        // permute edge values
s_waitcnt 0                                        // wait for swizzle operation
v_mov_b32 v64, v133                                // 
v_mov_b32 v133, v112                               // glvw 1 mb 0 tt1 33 r 0
ds_bpermute_b32 v133, v128, v133, offset:12        // permute edge values
s_waitcnt 0                                        // wait for swizzle operation
v_mov_b32 v96, v133                                // 
v_mov_b32 v133, v81                                // glvw 1 mb 0 tt1 34 r 0
ds_bpermute_b32 v133, v128, v133, offset:12        // permute edge values
s_waitcnt 0                                        // wait for swizzle operation
v_mov_b32 v65, v133                                // 
v_mov_b32 v133, v113                               // glvw 1 mb 0 tt1 35 r 0
ds_bpermute_b32 v133, v128, v133, offset:12        // permute edge values
s_waitcnt 0                                        // wait for swizzle operation
v_mov_b32 v97, v133                                // 
v_mov_b32 v133, v82                                // glvw 1 mb 0 tt1 36 r 0
ds_bpermute_b32 v133, v128, v133, offset:12        // permute edge values
s_waitcnt 0                                        // wait for swizzle operation
v_mov_b32 v66, v133                                // 
v_mov_b32 v133, v114                               // glvw 1 mb 0 tt1 37 r 0
ds_bpermute_b32 v133, v128, v133, offset:12        // permute edge values
s_waitcnt 0                                        // wait for swizzle operation
v_mov_b32 v98, v133                                // 
v_mov_b32 v133, v83                                // glvw 1 mb 0 tt1 38 r 0
ds_bpermute_b32 v133, v128, v133, offset:12        // permute edge values
s_waitcnt 0                                        // wait for swizzle operation
v_mov_b32 v67, v133                                // 
v_mov_b32 v133, v115                               // glvw 1 mb 0 tt1 39 r 0
ds_bpermute_b32 v133, v128, v133, offset:12        // permute edge values
s_waitcnt 0                                        // wait for swizzle operation
v_mov_b32 v99, v133                                // 
v_mov_b32 v133, v84                                // glvw 1 mb 0 tt1 40 r 0
ds_bpermute_b32 v133, v128, v133, offset:12        // permute edge values
s_waitcnt 0                                        // wait for swizzle operation
v_mov_b32 v68, v133                                // 
v_mov_b32 v133, v116                               // glvw 1 mb 0 tt1 41 r 0
ds_bpermute_b32 v133, v128, v133, offset:12        // permute edge values
s_waitcnt 0                                        // wait for swizzle operation
v_mov_b32 v100, v133                               // 
v_mov_b32 v133, v85                                // glvw 1 mb 0 tt1 42 r 0
ds_bpermute_b32 v133, v128, v133, offset:12        // permute edge values
s_waitcnt 0                                        // wait for swizzle operation
v_mov_b32 v69, v133                                // 
v_mov_b32 v133, v117                               // glvw 1 mb 0 tt1 43 r 0
ds_bpermute_b32 v133, v128, v133, offset:12        // permute edge values
s_waitcnt 0                                        // wait for swizzle operation
v_mov_b32 v101, v133                               // 
v_mov_b32 v133, v86                                // glvw 1 mb 0 tt1 44 r 0
ds_bpermute_b32 v133, v128, v133, offset:12        // permute edge values
s_waitcnt 0                                        // wait for swizzle operation
v_mov_b32 v70, v133                                // 
	;; [unrolled: 8-line block ×11, first 2 shown]
v_mov_b32 v133, v127                               // glvw 1 mb 0 tt1 63 r 0
ds_bpermute_b32 v133, v128, v133, offset:12        // permute edge values
s_waitcnt 0                                        // wait for swizzle operation
v_mov_b32 v111, v133                               // 
s_mov_b64 s[32:33], 0xFFFFFFFFFFFFFFFF             // to restore all threads active
s_or_saveexec_b64 vcc, s[32:33]                    // all threads active
s_branch label_0050                                // done shifting


/******************************************/
/* shift d0 r=2 mb=0 vw0                  */
/******************************************/
label_0034: // r2 mb0 vw0 
s_mov_b32 s32, 0                                   // 
_v_cmpx_eq_u32 s[32:33], v132, s32                 // is thread in edge glvw region
v_and_b32 v128, 63, v[vgprSerial]                  // permute register between threads
v_lshlrev_b32 v128, 2, v128                        // permute register between threads
v_mov_b32 v133, v0                                 // glvw 2 mb 0 tt1 0 r 0
v_mov_b32 v134, v16                                // glvw 2 mb 0 tt1 0 r 0
ds_bpermute_b32 v133, v128, v133, offset:12        // permute edge values
ds_bpermute_b32 v134, v128, v134, offset:12        // permute edge values
s_waitcnt 0                                        // wait for swizzle operation
v_mov_b32 v0, v133                                 // 
v_mov_b32 v16, v134                                // 
v_mov_b32 v133, v32                                // glvw 2 mb 0 tt1 1 r 0
v_mov_b32 v134, v48                                // glvw 2 mb 0 tt1 1 r 0
ds_bpermute_b32 v133, v128, v133, offset:12        // permute edge values
ds_bpermute_b32 v134, v128, v134, offset:12        // permute edge values
s_waitcnt 0                                        // wait for swizzle operation
v_mov_b32 v32, v133                                // 
v_mov_b32 v48, v134                                // 
v_mov_b32 v133, v1                                 // glvw 2 mb 0 tt1 2 r 0
v_mov_b32 v134, v17                                // glvw 2 mb 0 tt1 2 r 0
ds_bpermute_b32 v133, v128, v133, offset:12        // permute edge values
ds_bpermute_b32 v134, v128, v134, offset:12        // permute edge values
s_waitcnt 0                                        // wait for swizzle operation
v_mov_b32 v1, v133                                 // 
v_mov_b32 v17, v134                                // 
v_mov_b32 v133, v33                                // glvw 2 mb 0 tt1 3 r 0
v_mov_b32 v134, v49                                // glvw 2 mb 0 tt1 3 r 0
ds_bpermute_b32 v133, v128, v133, offset:12        // permute edge values
ds_bpermute_b32 v134, v128, v134, offset:12        // permute edge values
s_waitcnt 0                                        // wait for swizzle operation
v_mov_b32 v33, v133                                // 
v_mov_b32 v49, v134                                // 
	;; [unrolled: 14-line block ×10, first 2 shown]
v_mov_b32 v133, v10                                // glvw 2 mb 0 tt1 20 r 0
v_mov_b32 v134, v26                                // glvw 2 mb 0 tt1 20 r 0
ds_bpermute_b32 v133, v128, v133, offset:12        // permute edge values
ds_bpermute_b32 v134, v128, v134, offset:12        // permute edge values
s_waitcnt 0                                        // wait for swizzle operation
v_mov_b32 v10, v133                                // 
v_mov_b32 v26, v134                                // 
v_mov_b32 v133, v42                                // glvw 2 mb 0 tt1 21 r 0
v_mov_b32 v134, v58                                // glvw 2 mb 0 tt1 21 r 0
ds_bpermute_b32 v133, v128, v133, offset:12        // permute edge values
ds_bpermute_b32 v134, v128, v134, offset:12        // permute edge values
s_waitcnt 0                                        // wait for swizzle operation
v_mov_b32 v42, v133                                // 
v_mov_b32 v58, v134                                // 
	;; [unrolled: 7-line block ×13, first 2 shown]
v_mov_b32 v133, v96                                // glvw 2 mb 0 tt1 33 r 0
v_mov_b32 v134, v112                               // glvw 2 mb 0 tt1 33 r 0
ds_bpermute_b32 v133, v128, v133, offset:12        // permute edge values
ds_bpermute_b32 v134, v128, v134, offset:12        // permute edge values
s_waitcnt 0                                        // wait for swizzle operation
v_mov_b32 v96, v133                                // 
v_mov_b32 v112, v134                               // 
v_mov_b32 v133, v65                                // glvw 2 mb 0 tt1 34 r 0
v_mov_b32 v134, v81                                // glvw 2 mb 0 tt1 34 r 0
ds_bpermute_b32 v133, v128, v133, offset:12        // permute edge values
ds_bpermute_b32 v134, v128, v134, offset:12        // permute edge values
s_waitcnt 0                                        // wait for swizzle operation
v_mov_b32 v65, v133                                // 
v_mov_b32 v81, v134                                // 
v_mov_b32 v133, v97                                // glvw 2 mb 0 tt1 35 r 0
v_mov_b32 v134, v113                               // glvw 2 mb 0 tt1 35 r 0
ds_bpermute_b32 v133, v128, v133, offset:12        // permute edge values
ds_bpermute_b32 v134, v128, v134, offset:12        // permute edge values
s_waitcnt 0                                        // wait for swizzle operation
v_mov_b32 v97, v133                                // 
v_mov_b32 v113, v134                               // 
v_mov_b32 v133, v66                                // glvw 2 mb 0 tt1 36 r 0
v_mov_b32 v134, v82                                // glvw 2 mb 0 tt1 36 r 0
ds_bpermute_b32 v133, v128, v133, offset:12        // permute edge values
ds_bpermute_b32 v134, v128, v134, offset:12        // permute edge values
s_waitcnt 0                                        // wait for swizzle operation
v_mov_b32 v66, v133                                // 
v_mov_b32 v82, v134                                // 
	;; [unrolled: 14-line block ×4, first 2 shown]
v_mov_b32 v133, v100                               // glvw 2 mb 0 tt1 41 r 0
v_mov_b32 v134, v116                               // glvw 2 mb 0 tt1 41 r 0
ds_bpermute_b32 v133, v128, v133, offset:12        // permute edge values
ds_bpermute_b32 v134, v128, v134, offset:12        // permute edge values
s_waitcnt 0                                        // wait for swizzle operation
v_mov_b32 v100, v133                               // 
v_mov_b32 v116, v134                               // 
v_mov_b32 v133, v69                                // glvw 2 mb 0 tt1 42 r 0
v_mov_b32 v134, v85                                // glvw 2 mb 0 tt1 42 r 0
ds_bpermute_b32 v133, v128, v133, offset:12        // permute edge values
ds_bpermute_b32 v134, v128, v134, offset:12        // permute edge values
s_waitcnt 0                                        // wait for swizzle operation
v_mov_b32 v69, v133                                // 
v_mov_b32 v85, v134                                // 
v_mov_b32 v133, v101                               // glvw 2 mb 0 tt1 43 r 0
v_mov_b32 v134, v117                               // glvw 2 mb 0 tt1 43 r 0
ds_bpermute_b32 v133, v128, v133, offset:12        // permute edge values
ds_bpermute_b32 v134, v128, v134, offset:12        // permute edge values
s_waitcnt 0                                        // wait for swizzle operation
v_mov_b32 v101, v133                               // 
v_mov_b32 v117, v134                               // 
v_mov_b32 v133, v70                                // glvw 2 mb 0 tt1 44 r 0
v_mov_b32 v134, v86                                // glvw 2 mb 0 tt1 44 r 0
ds_bpermute_b32 v133, v128, v133, offset:12        // permute edge values
ds_bpermute_b32 v134, v128, v134, offset:12        // permute edge values
s_waitcnt 0                                        // wait for swizzle operation
v_mov_b32 v70, v133                                // 
v_mov_b32 v86, v134                                // 
	;; [unrolled: 14-line block ×11, first 2 shown]
v_mov_b32 v133, v111                               // glvw 2 mb 0 tt1 63 r 0
v_mov_b32 v134, v127                               // glvw 2 mb 0 tt1 63 r 0
ds_bpermute_b32 v133, v128, v133, offset:12        // permute edge values
ds_bpermute_b32 v134, v128, v134, offset:12        // permute edge values
s_waitcnt 0                                        // wait for swizzle operation
v_mov_b32 v111, v133                               // 
v_mov_b32 v127, v134                               // 
s_mov_b64 s[32:33], 0xFFFFFFFFFFFFFFFF             // to restore all threads active
s_or_saveexec_b64 vcc, s[32:33]                    // all threads active
s_branch label_0050                                // done shifting


/******************************************/
/* shift d0 r=3 mb=0 vw0                  */
/******************************************/
label_0037: // r3 mb0 vw0 
s_mov_b32 s32, 0                                   // 
_v_cmpx_eq_u32 s[32:33], v132, s32                 // is thread in edge glvw region
v_and_b32 v128, 63, v[vgprSerial]                  // permute register between threads
v_lshlrev_b32 v128, 2, v128                        // permute register between threads
v_mov_b32 v133, v16                                // glvw 3 mb 0 tt1 0 r 0
v_mov_b32 v134, v0                                 // glvw 3 mb 0 tt1 0 r 0
ds_bpermute_b32 v133, v128, v133, offset:8         // permute edge values
ds_bpermute_b32 v134, v128, v134, offset:12        // permute edge values
s_waitcnt 0                                        // wait for swizzle operation
v_mov_b32 v0, v133                                 // 
v_mov_b32 v16, v134                                // 
v_mov_b32 v133, v48                                // glvw 3 mb 0 tt1 1 r 0
v_mov_b32 v134, v32                                // glvw 3 mb 0 tt1 1 r 0
ds_bpermute_b32 v133, v128, v133, offset:8         // permute edge values
ds_bpermute_b32 v134, v128, v134, offset:12        // permute edge values
s_waitcnt 0                                        // wait for swizzle operation
v_mov_b32 v32, v133                                // 
v_mov_b32 v48, v134                                // 
v_mov_b32 v133, v17                                // glvw 3 mb 0 tt1 2 r 0
v_mov_b32 v134, v1                                 // glvw 3 mb 0 tt1 2 r 0
ds_bpermute_b32 v133, v128, v133, offset:8         // permute edge values
ds_bpermute_b32 v134, v128, v134, offset:12        // permute edge values
s_waitcnt 0                                        // wait for swizzle operation
v_mov_b32 v1, v133                                 // 
v_mov_b32 v17, v134                                // 
v_mov_b32 v133, v49                                // glvw 3 mb 0 tt1 3 r 0
v_mov_b32 v134, v33                                // glvw 3 mb 0 tt1 3 r 0
ds_bpermute_b32 v133, v128, v133, offset:8         // permute edge values
ds_bpermute_b32 v134, v128, v134, offset:12        // permute edge values
s_waitcnt 0                                        // wait for swizzle operation
v_mov_b32 v33, v133                                // 
v_mov_b32 v49, v134                                // 
	;; [unrolled: 14-line block ×10, first 2 shown]
v_mov_b32 v133, v26                                // glvw 3 mb 0 tt1 20 r 0
v_mov_b32 v134, v10                                // glvw 3 mb 0 tt1 20 r 0
ds_bpermute_b32 v133, v128, v133, offset:8         // permute edge values
ds_bpermute_b32 v134, v128, v134, offset:12        // permute edge values
s_waitcnt 0                                        // wait for swizzle operation
v_mov_b32 v10, v133                                // 
v_mov_b32 v26, v134                                // 
v_mov_b32 v133, v58                                // glvw 3 mb 0 tt1 21 r 0
v_mov_b32 v134, v42                                // glvw 3 mb 0 tt1 21 r 0
ds_bpermute_b32 v133, v128, v133, offset:8         // permute edge values
ds_bpermute_b32 v134, v128, v134, offset:12        // permute edge values
s_waitcnt 0                                        // wait for swizzle operation
v_mov_b32 v42, v133                                // 
v_mov_b32 v58, v134                                // 
	;; [unrolled: 7-line block ×13, first 2 shown]
v_mov_b32 v133, v112                               // glvw 3 mb 0 tt1 33 r 0
v_mov_b32 v134, v96                                // glvw 3 mb 0 tt1 33 r 0
ds_bpermute_b32 v133, v128, v133, offset:8         // permute edge values
ds_bpermute_b32 v134, v128, v134, offset:12        // permute edge values
s_waitcnt 0                                        // wait for swizzle operation
v_mov_b32 v96, v133                                // 
v_mov_b32 v112, v134                               // 
v_mov_b32 v133, v81                                // glvw 3 mb 0 tt1 34 r 0
v_mov_b32 v134, v65                                // glvw 3 mb 0 tt1 34 r 0
ds_bpermute_b32 v133, v128, v133, offset:8         // permute edge values
ds_bpermute_b32 v134, v128, v134, offset:12        // permute edge values
s_waitcnt 0                                        // wait for swizzle operation
v_mov_b32 v65, v133                                // 
v_mov_b32 v81, v134                                // 
v_mov_b32 v133, v113                               // glvw 3 mb 0 tt1 35 r 0
v_mov_b32 v134, v97                                // glvw 3 mb 0 tt1 35 r 0
ds_bpermute_b32 v133, v128, v133, offset:8         // permute edge values
ds_bpermute_b32 v134, v128, v134, offset:12        // permute edge values
s_waitcnt 0                                        // wait for swizzle operation
v_mov_b32 v97, v133                                // 
v_mov_b32 v113, v134                               // 
v_mov_b32 v133, v82                                // glvw 3 mb 0 tt1 36 r 0
v_mov_b32 v134, v66                                // glvw 3 mb 0 tt1 36 r 0
ds_bpermute_b32 v133, v128, v133, offset:8         // permute edge values
ds_bpermute_b32 v134, v128, v134, offset:12        // permute edge values
s_waitcnt 0                                        // wait for swizzle operation
v_mov_b32 v66, v133                                // 
v_mov_b32 v82, v134                                // 
	;; [unrolled: 14-line block ×4, first 2 shown]
v_mov_b32 v133, v116                               // glvw 3 mb 0 tt1 41 r 0
v_mov_b32 v134, v100                               // glvw 3 mb 0 tt1 41 r 0
ds_bpermute_b32 v133, v128, v133, offset:8         // permute edge values
ds_bpermute_b32 v134, v128, v134, offset:12        // permute edge values
s_waitcnt 0                                        // wait for swizzle operation
v_mov_b32 v100, v133                               // 
v_mov_b32 v116, v134                               // 
v_mov_b32 v133, v85                                // glvw 3 mb 0 tt1 42 r 0
v_mov_b32 v134, v69                                // glvw 3 mb 0 tt1 42 r 0
ds_bpermute_b32 v133, v128, v133, offset:8         // permute edge values
ds_bpermute_b32 v134, v128, v134, offset:12        // permute edge values
s_waitcnt 0                                        // wait for swizzle operation
v_mov_b32 v69, v133                                // 
v_mov_b32 v85, v134                                // 
v_mov_b32 v133, v117                               // glvw 3 mb 0 tt1 43 r 0
v_mov_b32 v134, v101                               // glvw 3 mb 0 tt1 43 r 0
ds_bpermute_b32 v133, v128, v133, offset:8         // permute edge values
ds_bpermute_b32 v134, v128, v134, offset:12        // permute edge values
s_waitcnt 0                                        // wait for swizzle operation
v_mov_b32 v101, v133                               // 
v_mov_b32 v117, v134                               // 
v_mov_b32 v133, v86                                // glvw 3 mb 0 tt1 44 r 0
v_mov_b32 v134, v70                                // glvw 3 mb 0 tt1 44 r 0
ds_bpermute_b32 v133, v128, v133, offset:8         // permute edge values
ds_bpermute_b32 v134, v128, v134, offset:12        // permute edge values
s_waitcnt 0                                        // wait for swizzle operation
v_mov_b32 v70, v133                                // 
v_mov_b32 v86, v134                                // 
	;; [unrolled: 14-line block ×11, first 2 shown]
v_mov_b32 v133, v127                               // glvw 3 mb 0 tt1 63 r 0
v_mov_b32 v134, v111                               // glvw 3 mb 0 tt1 63 r 0
ds_bpermute_b32 v133, v128, v133, offset:8         // permute edge values
ds_bpermute_b32 v134, v128, v134, offset:12        // permute edge values
s_waitcnt 0                                        // wait for swizzle operation
v_mov_b32 v111, v133                               // 
v_mov_b32 v127, v134                               // 
s_mov_b64 s[32:33], 0xFFFFFFFFFFFFFFFF             // to restore all threads active
s_or_saveexec_b64 vcc, s[32:33]                    // all threads active
s_branch label_0050                                // done shifting


/******************************************/
/* shift d0 r=4 mb=0 vw0                  */
/******************************************/
label_0040: // r4 mb0 vw0 
s_mov_b32 s32, 0                                   // 
_v_cmpx_eq_u32 s[32:33], v132, s32                 // is thread in edge glvw region
v_and_b32 v128, 63, v[vgprSerial]                  // permute register between threads
v_lshlrev_b32 v128, 2, v128                        // permute register between threads
v_mov_b32 v133, v0                                 // glvw 4 mb 0 tt1 0 r 0
v_mov_b32 v134, v16                                // glvw 4 mb 0 tt1 0 r 0
ds_bpermute_b32 v133, v128, v133, offset:8         // permute edge values
ds_bpermute_b32 v134, v128, v134, offset:8         // permute edge values
s_waitcnt 0                                        // wait for swizzle operation
v_mov_b32 v0, v133                                 // 
v_mov_b32 v16, v134                                // 
v_mov_b32 v133, v32                                // glvw 4 mb 0 tt1 1 r 0
v_mov_b32 v134, v48                                // glvw 4 mb 0 tt1 1 r 0
ds_bpermute_b32 v133, v128, v133, offset:8         // permute edge values
ds_bpermute_b32 v134, v128, v134, offset:8         // permute edge values
s_waitcnt 0                                        // wait for swizzle operation
v_mov_b32 v32, v133                                // 
v_mov_b32 v48, v134                                // 
v_mov_b32 v133, v1                                 // glvw 4 mb 0 tt1 2 r 0
v_mov_b32 v134, v17                                // glvw 4 mb 0 tt1 2 r 0
ds_bpermute_b32 v133, v128, v133, offset:8         // permute edge values
ds_bpermute_b32 v134, v128, v134, offset:8         // permute edge values
s_waitcnt 0                                        // wait for swizzle operation
v_mov_b32 v1, v133                                 // 
v_mov_b32 v17, v134                                // 
v_mov_b32 v133, v33                                // glvw 4 mb 0 tt1 3 r 0
v_mov_b32 v134, v49                                // glvw 4 mb 0 tt1 3 r 0
ds_bpermute_b32 v133, v128, v133, offset:8         // permute edge values
ds_bpermute_b32 v134, v128, v134, offset:8         // permute edge values
s_waitcnt 0                                        // wait for swizzle operation
v_mov_b32 v33, v133                                // 
v_mov_b32 v49, v134                                // 
	;; [unrolled: 14-line block ×10, first 2 shown]
v_mov_b32 v133, v10                                // glvw 4 mb 0 tt1 20 r 0
v_mov_b32 v134, v26                                // glvw 4 mb 0 tt1 20 r 0
ds_bpermute_b32 v133, v128, v133, offset:8         // permute edge values
ds_bpermute_b32 v134, v128, v134, offset:8         // permute edge values
s_waitcnt 0                                        // wait for swizzle operation
v_mov_b32 v10, v133                                // 
v_mov_b32 v26, v134                                // 
v_mov_b32 v133, v42                                // glvw 4 mb 0 tt1 21 r 0
v_mov_b32 v134, v58                                // glvw 4 mb 0 tt1 21 r 0
ds_bpermute_b32 v133, v128, v133, offset:8         // permute edge values
ds_bpermute_b32 v134, v128, v134, offset:8         // permute edge values
s_waitcnt 0                                        // wait for swizzle operation
v_mov_b32 v42, v133                                // 
v_mov_b32 v58, v134                                // 
v_mov_b32 v133, v11                                // glvw 4 mb 0 tt1 22 r 0
v_mov_b32 v134, v27                                // glvw 4 mb 0 tt1 22 r 0
ds_bpermute_b32 v133, v128, v133, offset:8         // permute edge values
ds_bpermute_b32 v134, v128, v134, offset:8         // permute edge values
s_waitcnt 0                                        // wait for swizzle operation
v_mov_b32 v11, v133                                // 
v_mov_b32 v27, v134                                // 
v_mov_b32 v133, v43                                // glvw 4 mb 0 tt1 23 r 0
v_mov_b32 v134, v59                                // glvw 4 mb 0 tt1 23 r 0
ds_bpermute_b32 v133, v128, v133, offset:8         // permute edge values
ds_bpermute_b32 v134, v128, v134, offset:8         // permute edge values
s_waitcnt 0                                        // wait for swizzle operation
v_mov_b32 v43, v133                                // 
v_mov_b32 v59, v134                                // 
v_mov_b32 v133, v12                                // glvw 4 mb 0 tt1 24 r 0
v_mov_b32 v134, v28                                // glvw 4 mb 0 tt1 24 r 0
ds_bpermute_b32 v133, v128, v133, offset:8         // permute edge values
ds_bpermute_b32 v134, v128, v134, offset:8         // permute edge values
s_waitcnt 0                                        // wait for swizzle operation
v_mov_b32 v12, v133                                // 
v_mov_b32 v28, v134                                // 
v_mov_b32 v133, v44                                // glvw 4 mb 0 tt1 25 r 0
v_mov_b32 v134, v60                                // glvw 4 mb 0 tt1 25 r 0
ds_bpermute_b32 v133, v128, v133, offset:8         // permute edge values
ds_bpermute_b32 v134, v128, v134, offset:8         // permute edge values
s_waitcnt 0                                        // wait for swizzle operation
v_mov_b32 v44, v133                                // 
v_mov_b32 v60, v134                                // 
v_mov_b32 v133, v13                                // glvw 4 mb 0 tt1 26 r 0
v_mov_b32 v134, v29                                // glvw 4 mb 0 tt1 26 r 0
ds_bpermute_b32 v133, v128, v133, offset:8         // permute edge values
ds_bpermute_b32 v134, v128, v134, offset:8         // permute edge values
s_waitcnt 0                                        // wait for swizzle operation
v_mov_b32 v13, v133                                // 
v_mov_b32 v29, v134                                // 
v_mov_b32 v133, v45                                // glvw 4 mb 0 tt1 27 r 0
v_mov_b32 v134, v61                                // glvw 4 mb 0 tt1 27 r 0
ds_bpermute_b32 v133, v128, v133, offset:8         // permute edge values
ds_bpermute_b32 v134, v128, v134, offset:8         // permute edge values
s_waitcnt 0                                        // wait for swizzle operation
v_mov_b32 v45, v133                                // 
v_mov_b32 v61, v134                                // 
v_mov_b32 v133, v14                                // glvw 4 mb 0 tt1 28 r 0
v_mov_b32 v134, v30                                // glvw 4 mb 0 tt1 28 r 0
ds_bpermute_b32 v133, v128, v133, offset:8         // permute edge values
ds_bpermute_b32 v134, v128, v134, offset:8         // permute edge values
s_waitcnt 0                                        // wait for swizzle operation
v_mov_b32 v14, v133                                // 
v_mov_b32 v30, v134                                // 
v_mov_b32 v133, v46                                // glvw 4 mb 0 tt1 29 r 0
v_mov_b32 v134, v62                                // glvw 4 mb 0 tt1 29 r 0
ds_bpermute_b32 v133, v128, v133, offset:8         // permute edge values
ds_bpermute_b32 v134, v128, v134, offset:8         // permute edge values
s_waitcnt 0                                        // wait for swizzle operation
v_mov_b32 v46, v133                                // 
v_mov_b32 v62, v134                                // 
v_mov_b32 v133, v15                                // glvw 4 mb 0 tt1 30 r 0
v_mov_b32 v134, v31                                // glvw 4 mb 0 tt1 30 r 0
ds_bpermute_b32 v133, v128, v133, offset:8         // permute edge values
ds_bpermute_b32 v134, v128, v134, offset:8         // permute edge values
s_waitcnt 0                                        // wait for swizzle operation
v_mov_b32 v15, v133                                // 
v_mov_b32 v31, v134                                // 
v_mov_b32 v133, v47                                // glvw 4 mb 0 tt1 31 r 0
v_mov_b32 v134, v63                                // glvw 4 mb 0 tt1 31 r 0
ds_bpermute_b32 v133, v128, v133, offset:8         // permute edge values
ds_bpermute_b32 v134, v128, v134, offset:8         // permute edge values
s_waitcnt 0                                        // wait for swizzle operation
v_mov_b32 v47, v133                                // 
v_mov_b32 v63, v134                                // 
v_mov_b32 v133, v64                                // glvw 4 mb 0 tt1 32 r 0
v_mov_b32 v134, v80                                // glvw 4 mb 0 tt1 32 r 0
ds_bpermute_b32 v133, v128, v133, offset:8         // permute edge values
ds_bpermute_b32 v134, v128, v134, offset:8         // permute edge values
s_waitcnt 0                                        // wait for swizzle operation
v_mov_b32 v64, v133                                // 
v_mov_b32 v80, v134                                // 
v_mov_b32 v133, v96                                // glvw 4 mb 0 tt1 33 r 0
v_mov_b32 v134, v112                               // glvw 4 mb 0 tt1 33 r 0
ds_bpermute_b32 v133, v128, v133, offset:8         // permute edge values
ds_bpermute_b32 v134, v128, v134, offset:8         // permute edge values
s_waitcnt 0                                        // wait for swizzle operation
v_mov_b32 v96, v133                                // 
v_mov_b32 v112, v134                               // 
v_mov_b32 v133, v65                                // glvw 4 mb 0 tt1 34 r 0
v_mov_b32 v134, v81                                // glvw 4 mb 0 tt1 34 r 0
ds_bpermute_b32 v133, v128, v133, offset:8         // permute edge values
ds_bpermute_b32 v134, v128, v134, offset:8         // permute edge values
s_waitcnt 0                                        // wait for swizzle operation
v_mov_b32 v65, v133                                // 
v_mov_b32 v81, v134                                // 
v_mov_b32 v133, v97                                // glvw 4 mb 0 tt1 35 r 0
v_mov_b32 v134, v113                               // glvw 4 mb 0 tt1 35 r 0
ds_bpermute_b32 v133, v128, v133, offset:8         // permute edge values
ds_bpermute_b32 v134, v128, v134, offset:8         // permute edge values
s_waitcnt 0                                        // wait for swizzle operation
v_mov_b32 v97, v133                                // 
v_mov_b32 v113, v134                               // 
v_mov_b32 v133, v66                                // glvw 4 mb 0 tt1 36 r 0
v_mov_b32 v134, v82                                // glvw 4 mb 0 tt1 36 r 0
ds_bpermute_b32 v133, v128, v133, offset:8         // permute edge values
ds_bpermute_b32 v134, v128, v134, offset:8         // permute edge values
s_waitcnt 0                                        // wait for swizzle operation
v_mov_b32 v66, v133                                // 
v_mov_b32 v82, v134                                // 
	;; [unrolled: 14-line block ×4, first 2 shown]
v_mov_b32 v133, v100                               // glvw 4 mb 0 tt1 41 r 0
v_mov_b32 v134, v116                               // glvw 4 mb 0 tt1 41 r 0
ds_bpermute_b32 v133, v128, v133, offset:8         // permute edge values
ds_bpermute_b32 v134, v128, v134, offset:8         // permute edge values
s_waitcnt 0                                        // wait for swizzle operation
v_mov_b32 v100, v133                               // 
v_mov_b32 v116, v134                               // 
v_mov_b32 v133, v69                                // glvw 4 mb 0 tt1 42 r 0
v_mov_b32 v134, v85                                // glvw 4 mb 0 tt1 42 r 0
ds_bpermute_b32 v133, v128, v133, offset:8         // permute edge values
ds_bpermute_b32 v134, v128, v134, offset:8         // permute edge values
s_waitcnt 0                                        // wait for swizzle operation
v_mov_b32 v69, v133                                // 
v_mov_b32 v85, v134                                // 
v_mov_b32 v133, v101                               // glvw 4 mb 0 tt1 43 r 0
v_mov_b32 v134, v117                               // glvw 4 mb 0 tt1 43 r 0
ds_bpermute_b32 v133, v128, v133, offset:8         // permute edge values
ds_bpermute_b32 v134, v128, v134, offset:8         // permute edge values
s_waitcnt 0                                        // wait for swizzle operation
v_mov_b32 v101, v133                               // 
v_mov_b32 v117, v134                               // 
v_mov_b32 v133, v70                                // glvw 4 mb 0 tt1 44 r 0
v_mov_b32 v134, v86                                // glvw 4 mb 0 tt1 44 r 0
ds_bpermute_b32 v133, v128, v133, offset:8         // permute edge values
ds_bpermute_b32 v134, v128, v134, offset:8         // permute edge values
s_waitcnt 0                                        // wait for swizzle operation
v_mov_b32 v70, v133                                // 
v_mov_b32 v86, v134                                // 
	;; [unrolled: 14-line block ×11, first 2 shown]
v_mov_b32 v133, v111                               // glvw 4 mb 0 tt1 63 r 0
v_mov_b32 v134, v127                               // glvw 4 mb 0 tt1 63 r 0
ds_bpermute_b32 v133, v128, v133, offset:8         // permute edge values
ds_bpermute_b32 v134, v128, v134, offset:8         // permute edge values
s_waitcnt 0                                        // wait for swizzle operation
v_mov_b32 v111, v133                               // 
v_mov_b32 v127, v134                               // 
s_mov_b64 s[32:33], 0xFFFFFFFFFFFFFFFF             // to restore all threads active
s_or_saveexec_b64 vcc, s[32:33]                    // all threads active
s_branch label_0050                                // done shifting


/******************************************/
/* shift d0 r=5 mb=0 vw0                  */
/******************************************/
label_0043: // r5 mb0 vw0 
s_mov_b32 s32, 0                                   // 
_v_cmpx_eq_u32 s[32:33], v132, s32                 // is thread in edge glvw region
v_and_b32 v128, 63, v[vgprSerial]                  // permute register between threads
v_lshlrev_b32 v128, 2, v128                        // permute register between threads
v_mov_b32 v133, v16                                // glvw 5 mb 0 tt1 0 r 0
v_mov_b32 v134, v0                                 // glvw 5 mb 0 tt1 0 r 0
ds_bpermute_b32 v133, v128, v133, offset:4         // permute edge values
ds_bpermute_b32 v134, v128, v134, offset:8         // permute edge values
s_waitcnt 0                                        // wait for swizzle operation
v_mov_b32 v0, v133                                 // 
v_mov_b32 v16, v134                                // 
v_mov_b32 v133, v48                                // glvw 5 mb 0 tt1 1 r 0
v_mov_b32 v134, v32                                // glvw 5 mb 0 tt1 1 r 0
ds_bpermute_b32 v133, v128, v133, offset:4         // permute edge values
ds_bpermute_b32 v134, v128, v134, offset:8         // permute edge values
s_waitcnt 0                                        // wait for swizzle operation
v_mov_b32 v32, v133                                // 
v_mov_b32 v48, v134                                // 
v_mov_b32 v133, v17                                // glvw 5 mb 0 tt1 2 r 0
v_mov_b32 v134, v1                                 // glvw 5 mb 0 tt1 2 r 0
ds_bpermute_b32 v133, v128, v133, offset:4         // permute edge values
ds_bpermute_b32 v134, v128, v134, offset:8         // permute edge values
s_waitcnt 0                                        // wait for swizzle operation
v_mov_b32 v1, v133                                 // 
v_mov_b32 v17, v134                                // 
v_mov_b32 v133, v49                                // glvw 5 mb 0 tt1 3 r 0
v_mov_b32 v134, v33                                // glvw 5 mb 0 tt1 3 r 0
ds_bpermute_b32 v133, v128, v133, offset:4         // permute edge values
ds_bpermute_b32 v134, v128, v134, offset:8         // permute edge values
s_waitcnt 0                                        // wait for swizzle operation
v_mov_b32 v33, v133                                // 
v_mov_b32 v49, v134                                // 
	;; [unrolled: 14-line block ×10, first 2 shown]
v_mov_b32 v133, v26                                // glvw 5 mb 0 tt1 20 r 0
v_mov_b32 v134, v10                                // glvw 5 mb 0 tt1 20 r 0
ds_bpermute_b32 v133, v128, v133, offset:4         // permute edge values
ds_bpermute_b32 v134, v128, v134, offset:8         // permute edge values
s_waitcnt 0                                        // wait for swizzle operation
v_mov_b32 v10, v133                                // 
v_mov_b32 v26, v134                                // 
v_mov_b32 v133, v58                                // glvw 5 mb 0 tt1 21 r 0
v_mov_b32 v134, v42                                // glvw 5 mb 0 tt1 21 r 0
ds_bpermute_b32 v133, v128, v133, offset:4         // permute edge values
ds_bpermute_b32 v134, v128, v134, offset:8         // permute edge values
s_waitcnt 0                                        // wait for swizzle operation
v_mov_b32 v42, v133                                // 
v_mov_b32 v58, v134                                // 
	;; [unrolled: 7-line block ×13, first 2 shown]
v_mov_b32 v133, v112                               // glvw 5 mb 0 tt1 33 r 0
v_mov_b32 v134, v96                                // glvw 5 mb 0 tt1 33 r 0
ds_bpermute_b32 v133, v128, v133, offset:4         // permute edge values
ds_bpermute_b32 v134, v128, v134, offset:8         // permute edge values
s_waitcnt 0                                        // wait for swizzle operation
v_mov_b32 v96, v133                                // 
v_mov_b32 v112, v134                               // 
v_mov_b32 v133, v81                                // glvw 5 mb 0 tt1 34 r 0
v_mov_b32 v134, v65                                // glvw 5 mb 0 tt1 34 r 0
ds_bpermute_b32 v133, v128, v133, offset:4         // permute edge values
ds_bpermute_b32 v134, v128, v134, offset:8         // permute edge values
s_waitcnt 0                                        // wait for swizzle operation
v_mov_b32 v65, v133                                // 
v_mov_b32 v81, v134                                // 
v_mov_b32 v133, v113                               // glvw 5 mb 0 tt1 35 r 0
v_mov_b32 v134, v97                                // glvw 5 mb 0 tt1 35 r 0
ds_bpermute_b32 v133, v128, v133, offset:4         // permute edge values
ds_bpermute_b32 v134, v128, v134, offset:8         // permute edge values
s_waitcnt 0                                        // wait for swizzle operation
v_mov_b32 v97, v133                                // 
v_mov_b32 v113, v134                               // 
v_mov_b32 v133, v82                                // glvw 5 mb 0 tt1 36 r 0
v_mov_b32 v134, v66                                // glvw 5 mb 0 tt1 36 r 0
ds_bpermute_b32 v133, v128, v133, offset:4         // permute edge values
ds_bpermute_b32 v134, v128, v134, offset:8         // permute edge values
s_waitcnt 0                                        // wait for swizzle operation
v_mov_b32 v66, v133                                // 
v_mov_b32 v82, v134                                // 
	;; [unrolled: 14-line block ×4, first 2 shown]
v_mov_b32 v133, v116                               // glvw 5 mb 0 tt1 41 r 0
v_mov_b32 v134, v100                               // glvw 5 mb 0 tt1 41 r 0
ds_bpermute_b32 v133, v128, v133, offset:4         // permute edge values
ds_bpermute_b32 v134, v128, v134, offset:8         // permute edge values
s_waitcnt 0                                        // wait for swizzle operation
v_mov_b32 v100, v133                               // 
v_mov_b32 v116, v134                               // 
v_mov_b32 v133, v85                                // glvw 5 mb 0 tt1 42 r 0
v_mov_b32 v134, v69                                // glvw 5 mb 0 tt1 42 r 0
ds_bpermute_b32 v133, v128, v133, offset:4         // permute edge values
ds_bpermute_b32 v134, v128, v134, offset:8         // permute edge values
s_waitcnt 0                                        // wait for swizzle operation
v_mov_b32 v69, v133                                // 
v_mov_b32 v85, v134                                // 
v_mov_b32 v133, v117                               // glvw 5 mb 0 tt1 43 r 0
v_mov_b32 v134, v101                               // glvw 5 mb 0 tt1 43 r 0
ds_bpermute_b32 v133, v128, v133, offset:4         // permute edge values
ds_bpermute_b32 v134, v128, v134, offset:8         // permute edge values
s_waitcnt 0                                        // wait for swizzle operation
v_mov_b32 v101, v133                               // 
v_mov_b32 v117, v134                               // 
v_mov_b32 v133, v86                                // glvw 5 mb 0 tt1 44 r 0
v_mov_b32 v134, v70                                // glvw 5 mb 0 tt1 44 r 0
ds_bpermute_b32 v133, v128, v133, offset:4         // permute edge values
ds_bpermute_b32 v134, v128, v134, offset:8         // permute edge values
s_waitcnt 0                                        // wait for swizzle operation
v_mov_b32 v70, v133                                // 
v_mov_b32 v86, v134                                // 
	;; [unrolled: 14-line block ×11, first 2 shown]
v_mov_b32 v133, v127                               // glvw 5 mb 0 tt1 63 r 0
v_mov_b32 v134, v111                               // glvw 5 mb 0 tt1 63 r 0
ds_bpermute_b32 v133, v128, v133, offset:4         // permute edge values
ds_bpermute_b32 v134, v128, v134, offset:8         // permute edge values
s_waitcnt 0                                        // wait for swizzle operation
v_mov_b32 v111, v133                               // 
v_mov_b32 v127, v134                               // 
s_mov_b64 s[32:33], 0xFFFFFFFFFFFFFFFF             // to restore all threads active
s_or_saveexec_b64 vcc, s[32:33]                    // all threads active
s_branch label_0050                                // done shifting


/******************************************/
/* shift d0 r=6 mb=0 vw0                  */
/******************************************/
label_0046: // r6 mb0 vw0 
s_mov_b32 s32, 0                                   // 
_v_cmpx_eq_u32 s[32:33], v132, s32                 // is thread in edge glvw region
v_and_b32 v128, 63, v[vgprSerial]                  // permute register between threads
v_lshlrev_b32 v128, 2, v128                        // permute register between threads
v_mov_b32 v133, v0                                 // glvw 6 mb 0 tt1 0 r 0
v_mov_b32 v134, v16                                // glvw 6 mb 0 tt1 0 r 0
ds_bpermute_b32 v133, v128, v133, offset:4         // permute edge values
ds_bpermute_b32 v134, v128, v134, offset:4         // permute edge values
s_waitcnt 0                                        // wait for swizzle operation
v_mov_b32 v0, v133                                 // 
v_mov_b32 v16, v134                                // 
v_mov_b32 v133, v32                                // glvw 6 mb 0 tt1 1 r 0
v_mov_b32 v134, v48                                // glvw 6 mb 0 tt1 1 r 0
ds_bpermute_b32 v133, v128, v133, offset:4         // permute edge values
ds_bpermute_b32 v134, v128, v134, offset:4         // permute edge values
s_waitcnt 0                                        // wait for swizzle operation
v_mov_b32 v32, v133                                // 
v_mov_b32 v48, v134                                // 
v_mov_b32 v133, v1                                 // glvw 6 mb 0 tt1 2 r 0
v_mov_b32 v134, v17                                // glvw 6 mb 0 tt1 2 r 0
ds_bpermute_b32 v133, v128, v133, offset:4         // permute edge values
ds_bpermute_b32 v134, v128, v134, offset:4         // permute edge values
s_waitcnt 0                                        // wait for swizzle operation
v_mov_b32 v1, v133                                 // 
v_mov_b32 v17, v134                                // 
v_mov_b32 v133, v33                                // glvw 6 mb 0 tt1 3 r 0
v_mov_b32 v134, v49                                // glvw 6 mb 0 tt1 3 r 0
ds_bpermute_b32 v133, v128, v133, offset:4         // permute edge values
ds_bpermute_b32 v134, v128, v134, offset:4         // permute edge values
s_waitcnt 0                                        // wait for swizzle operation
v_mov_b32 v33, v133                                // 
v_mov_b32 v49, v134                                // 
	;; [unrolled: 14-line block ×10, first 2 shown]
v_mov_b32 v133, v10                                // glvw 6 mb 0 tt1 20 r 0
v_mov_b32 v134, v26                                // glvw 6 mb 0 tt1 20 r 0
ds_bpermute_b32 v133, v128, v133, offset:4         // permute edge values
ds_bpermute_b32 v134, v128, v134, offset:4         // permute edge values
s_waitcnt 0                                        // wait for swizzle operation
v_mov_b32 v10, v133                                // 
v_mov_b32 v26, v134                                // 
v_mov_b32 v133, v42                                // glvw 6 mb 0 tt1 21 r 0
v_mov_b32 v134, v58                                // glvw 6 mb 0 tt1 21 r 0
ds_bpermute_b32 v133, v128, v133, offset:4         // permute edge values
ds_bpermute_b32 v134, v128, v134, offset:4         // permute edge values
s_waitcnt 0                                        // wait for swizzle operation
v_mov_b32 v42, v133                                // 
v_mov_b32 v58, v134                                // 
v_mov_b32 v133, v11                                // glvw 6 mb 0 tt1 22 r 0
v_mov_b32 v134, v27                                // glvw 6 mb 0 tt1 22 r 0
ds_bpermute_b32 v133, v128, v133, offset:4         // permute edge values
ds_bpermute_b32 v134, v128, v134, offset:4         // permute edge values
s_waitcnt 0                                        // wait for swizzle operation
v_mov_b32 v11, v133                                // 
v_mov_b32 v27, v134                                // 
v_mov_b32 v133, v43                                // glvw 6 mb 0 tt1 23 r 0
v_mov_b32 v134, v59                                // glvw 6 mb 0 tt1 23 r 0
ds_bpermute_b32 v133, v128, v133, offset:4         // permute edge values
ds_bpermute_b32 v134, v128, v134, offset:4         // permute edge values
s_waitcnt 0                                        // wait for swizzle operation
v_mov_b32 v43, v133                                // 
v_mov_b32 v59, v134                                // 
v_mov_b32 v133, v12                                // glvw 6 mb 0 tt1 24 r 0
v_mov_b32 v134, v28                                // glvw 6 mb 0 tt1 24 r 0
ds_bpermute_b32 v133, v128, v133, offset:4         // permute edge values
ds_bpermute_b32 v134, v128, v134, offset:4         // permute edge values
s_waitcnt 0                                        // wait for swizzle operation
v_mov_b32 v12, v133                                // 
v_mov_b32 v28, v134                                // 
v_mov_b32 v133, v44                                // glvw 6 mb 0 tt1 25 r 0
v_mov_b32 v134, v60                                // glvw 6 mb 0 tt1 25 r 0
ds_bpermute_b32 v133, v128, v133, offset:4         // permute edge values
ds_bpermute_b32 v134, v128, v134, offset:4         // permute edge values
s_waitcnt 0                                        // wait for swizzle operation
v_mov_b32 v44, v133                                // 
v_mov_b32 v60, v134                                // 
v_mov_b32 v133, v13                                // glvw 6 mb 0 tt1 26 r 0
v_mov_b32 v134, v29                                // glvw 6 mb 0 tt1 26 r 0
ds_bpermute_b32 v133, v128, v133, offset:4         // permute edge values
ds_bpermute_b32 v134, v128, v134, offset:4         // permute edge values
s_waitcnt 0                                        // wait for swizzle operation
v_mov_b32 v13, v133                                // 
v_mov_b32 v29, v134                                // 
v_mov_b32 v133, v45                                // glvw 6 mb 0 tt1 27 r 0
v_mov_b32 v134, v61                                // glvw 6 mb 0 tt1 27 r 0
ds_bpermute_b32 v133, v128, v133, offset:4         // permute edge values
ds_bpermute_b32 v134, v128, v134, offset:4         // permute edge values
s_waitcnt 0                                        // wait for swizzle operation
v_mov_b32 v45, v133                                // 
v_mov_b32 v61, v134                                // 
v_mov_b32 v133, v14                                // glvw 6 mb 0 tt1 28 r 0
v_mov_b32 v134, v30                                // glvw 6 mb 0 tt1 28 r 0
ds_bpermute_b32 v133, v128, v133, offset:4         // permute edge values
ds_bpermute_b32 v134, v128, v134, offset:4         // permute edge values
s_waitcnt 0                                        // wait for swizzle operation
v_mov_b32 v14, v133                                // 
v_mov_b32 v30, v134                                // 
v_mov_b32 v133, v46                                // glvw 6 mb 0 tt1 29 r 0
v_mov_b32 v134, v62                                // glvw 6 mb 0 tt1 29 r 0
ds_bpermute_b32 v133, v128, v133, offset:4         // permute edge values
ds_bpermute_b32 v134, v128, v134, offset:4         // permute edge values
s_waitcnt 0                                        // wait for swizzle operation
v_mov_b32 v46, v133                                // 
v_mov_b32 v62, v134                                // 
v_mov_b32 v133, v15                                // glvw 6 mb 0 tt1 30 r 0
v_mov_b32 v134, v31                                // glvw 6 mb 0 tt1 30 r 0
ds_bpermute_b32 v133, v128, v133, offset:4         // permute edge values
ds_bpermute_b32 v134, v128, v134, offset:4         // permute edge values
s_waitcnt 0                                        // wait for swizzle operation
v_mov_b32 v15, v133                                // 
v_mov_b32 v31, v134                                // 
v_mov_b32 v133, v47                                // glvw 6 mb 0 tt1 31 r 0
v_mov_b32 v134, v63                                // glvw 6 mb 0 tt1 31 r 0
ds_bpermute_b32 v133, v128, v133, offset:4         // permute edge values
ds_bpermute_b32 v134, v128, v134, offset:4         // permute edge values
s_waitcnt 0                                        // wait for swizzle operation
v_mov_b32 v47, v133                                // 
v_mov_b32 v63, v134                                // 
v_mov_b32 v133, v64                                // glvw 6 mb 0 tt1 32 r 0
v_mov_b32 v134, v80                                // glvw 6 mb 0 tt1 32 r 0
ds_bpermute_b32 v133, v128, v133, offset:4         // permute edge values
ds_bpermute_b32 v134, v128, v134, offset:4         // permute edge values
s_waitcnt 0                                        // wait for swizzle operation
v_mov_b32 v64, v133                                // 
v_mov_b32 v80, v134                                // 
v_mov_b32 v133, v96                                // glvw 6 mb 0 tt1 33 r 0
v_mov_b32 v134, v112                               // glvw 6 mb 0 tt1 33 r 0
ds_bpermute_b32 v133, v128, v133, offset:4         // permute edge values
ds_bpermute_b32 v134, v128, v134, offset:4         // permute edge values
s_waitcnt 0                                        // wait for swizzle operation
v_mov_b32 v96, v133                                // 
v_mov_b32 v112, v134                               // 
v_mov_b32 v133, v65                                // glvw 6 mb 0 tt1 34 r 0
v_mov_b32 v134, v81                                // glvw 6 mb 0 tt1 34 r 0
ds_bpermute_b32 v133, v128, v133, offset:4         // permute edge values
ds_bpermute_b32 v134, v128, v134, offset:4         // permute edge values
s_waitcnt 0                                        // wait for swizzle operation
v_mov_b32 v65, v133                                // 
v_mov_b32 v81, v134                                // 
v_mov_b32 v133, v97                                // glvw 6 mb 0 tt1 35 r 0
v_mov_b32 v134, v113                               // glvw 6 mb 0 tt1 35 r 0
ds_bpermute_b32 v133, v128, v133, offset:4         // permute edge values
ds_bpermute_b32 v134, v128, v134, offset:4         // permute edge values
s_waitcnt 0                                        // wait for swizzle operation
v_mov_b32 v97, v133                                // 
v_mov_b32 v113, v134                               // 
v_mov_b32 v133, v66                                // glvw 6 mb 0 tt1 36 r 0
v_mov_b32 v134, v82                                // glvw 6 mb 0 tt1 36 r 0
ds_bpermute_b32 v133, v128, v133, offset:4         // permute edge values
ds_bpermute_b32 v134, v128, v134, offset:4         // permute edge values
s_waitcnt 0                                        // wait for swizzle operation
v_mov_b32 v66, v133                                // 
v_mov_b32 v82, v134                                // 
	;; [unrolled: 14-line block ×4, first 2 shown]
v_mov_b32 v133, v100                               // glvw 6 mb 0 tt1 41 r 0
v_mov_b32 v134, v116                               // glvw 6 mb 0 tt1 41 r 0
ds_bpermute_b32 v133, v128, v133, offset:4         // permute edge values
ds_bpermute_b32 v134, v128, v134, offset:4         // permute edge values
s_waitcnt 0                                        // wait for swizzle operation
v_mov_b32 v100, v133                               // 
v_mov_b32 v116, v134                               // 
v_mov_b32 v133, v69                                // glvw 6 mb 0 tt1 42 r 0
v_mov_b32 v134, v85                                // glvw 6 mb 0 tt1 42 r 0
ds_bpermute_b32 v133, v128, v133, offset:4         // permute edge values
ds_bpermute_b32 v134, v128, v134, offset:4         // permute edge values
s_waitcnt 0                                        // wait for swizzle operation
v_mov_b32 v69, v133                                // 
v_mov_b32 v85, v134                                // 
v_mov_b32 v133, v101                               // glvw 6 mb 0 tt1 43 r 0
v_mov_b32 v134, v117                               // glvw 6 mb 0 tt1 43 r 0
ds_bpermute_b32 v133, v128, v133, offset:4         // permute edge values
ds_bpermute_b32 v134, v128, v134, offset:4         // permute edge values
s_waitcnt 0                                        // wait for swizzle operation
v_mov_b32 v101, v133                               // 
v_mov_b32 v117, v134                               // 
v_mov_b32 v133, v70                                // glvw 6 mb 0 tt1 44 r 0
v_mov_b32 v134, v86                                // glvw 6 mb 0 tt1 44 r 0
ds_bpermute_b32 v133, v128, v133, offset:4         // permute edge values
ds_bpermute_b32 v134, v128, v134, offset:4         // permute edge values
s_waitcnt 0                                        // wait for swizzle operation
v_mov_b32 v70, v133                                // 
v_mov_b32 v86, v134                                // 
	;; [unrolled: 14-line block ×11, first 2 shown]
v_mov_b32 v133, v111                               // glvw 6 mb 0 tt1 63 r 0
v_mov_b32 v134, v127                               // glvw 6 mb 0 tt1 63 r 0
ds_bpermute_b32 v133, v128, v133, offset:4         // permute edge values
ds_bpermute_b32 v134, v128, v134, offset:4         // permute edge values
s_waitcnt 0                                        // wait for swizzle operation
v_mov_b32 v111, v133                               // 
v_mov_b32 v127, v134                               // 
s_mov_b64 s[32:33], 0xFFFFFFFFFFFFFFFF             // to restore all threads active
s_or_saveexec_b64 vcc, s[32:33]                    // all threads active
s_branch label_0050                                // done shifting


/******************************************/
/* shift d0 r=7 mb=0 vw0                  */
/******************************************/
label_0049: // r7 mb0 vw0 
s_mov_b32 s32, 0                                   // 
_v_cmpx_eq_u32 s[32:33], v132, s32                 // is thread in edge glvw region
v_and_b32 v128, 63, v[vgprSerial]                  // permute register between threads
v_lshlrev_b32 v128, 2, v128                        // permute register between threads
v_mov_b32 v133, v16                                // glvw 7 mb 0 tt1 0 r 0
v_mov_b32 v134, v0                                 // glvw 7 mb 0 tt1 0 r 0
ds_bpermute_b32 v134, v128, v134, offset:4         // permute edge values
s_waitcnt 0                                        // wait for swizzle operation
v_mov_b32 v0, v133                                 // 
v_mov_b32 v16, v134                                // 
v_mov_b32 v133, v48                                // glvw 7 mb 0 tt1 1 r 0
v_mov_b32 v134, v32                                // glvw 7 mb 0 tt1 1 r 0
ds_bpermute_b32 v134, v128, v134, offset:4         // permute edge values
s_waitcnt 0                                        // wait for swizzle operation
v_mov_b32 v32, v133                                // 
v_mov_b32 v48, v134                                // 
v_mov_b32 v133, v17                                // glvw 7 mb 0 tt1 2 r 0
v_mov_b32 v134, v1                                 // glvw 7 mb 0 tt1 2 r 0
ds_bpermute_b32 v134, v128, v134, offset:4         // permute edge values
s_waitcnt 0                                        // wait for swizzle operation
v_mov_b32 v1, v133                                 // 
v_mov_b32 v17, v134                                // 
v_mov_b32 v133, v49                                // glvw 7 mb 0 tt1 3 r 0
v_mov_b32 v134, v33                                // glvw 7 mb 0 tt1 3 r 0
ds_bpermute_b32 v134, v128, v134, offset:4         // permute edge values
s_waitcnt 0                                        // wait for swizzle operation
v_mov_b32 v33, v133                                // 
v_mov_b32 v49, v134                                // 
	;; [unrolled: 12-line block ×10, first 2 shown]
v_mov_b32 v133, v26                                // glvw 7 mb 0 tt1 20 r 0
v_mov_b32 v134, v10                                // glvw 7 mb 0 tt1 20 r 0
ds_bpermute_b32 v134, v128, v134, offset:4         // permute edge values
s_waitcnt 0                                        // wait for swizzle operation
v_mov_b32 v10, v133                                // 
v_mov_b32 v26, v134                                // 
v_mov_b32 v133, v58                                // glvw 7 mb 0 tt1 21 r 0
v_mov_b32 v134, v42                                // glvw 7 mb 0 tt1 21 r 0
ds_bpermute_b32 v134, v128, v134, offset:4         // permute edge values
s_waitcnt 0                                        // wait for swizzle operation
v_mov_b32 v42, v133                                // 
v_mov_b32 v58, v134                                // 
	;; [unrolled: 6-line block ×13, first 2 shown]
v_mov_b32 v133, v112                               // glvw 7 mb 0 tt1 33 r 0
v_mov_b32 v134, v96                                // glvw 7 mb 0 tt1 33 r 0
ds_bpermute_b32 v134, v128, v134, offset:4         // permute edge values
s_waitcnt 0                                        // wait for swizzle operation
v_mov_b32 v96, v133                                // 
v_mov_b32 v112, v134                               // 
v_mov_b32 v133, v81                                // glvw 7 mb 0 tt1 34 r 0
v_mov_b32 v134, v65                                // glvw 7 mb 0 tt1 34 r 0
ds_bpermute_b32 v134, v128, v134, offset:4         // permute edge values
s_waitcnt 0                                        // wait for swizzle operation
v_mov_b32 v65, v133                                // 
v_mov_b32 v81, v134                                // 
v_mov_b32 v133, v113                               // glvw 7 mb 0 tt1 35 r 0
v_mov_b32 v134, v97                                // glvw 7 mb 0 tt1 35 r 0
ds_bpermute_b32 v134, v128, v134, offset:4         // permute edge values
s_waitcnt 0                                        // wait for swizzle operation
v_mov_b32 v97, v133                                // 
v_mov_b32 v113, v134                               // 
v_mov_b32 v133, v82                                // glvw 7 mb 0 tt1 36 r 0
v_mov_b32 v134, v66                                // glvw 7 mb 0 tt1 36 r 0
ds_bpermute_b32 v134, v128, v134, offset:4         // permute edge values
s_waitcnt 0                                        // wait for swizzle operation
v_mov_b32 v66, v133                                // 
v_mov_b32 v82, v134                                // 
	;; [unrolled: 12-line block ×4, first 2 shown]
v_mov_b32 v133, v116                               // glvw 7 mb 0 tt1 41 r 0
v_mov_b32 v134, v100                               // glvw 7 mb 0 tt1 41 r 0
ds_bpermute_b32 v134, v128, v134, offset:4         // permute edge values
s_waitcnt 0                                        // wait for swizzle operation
v_mov_b32 v100, v133                               // 
v_mov_b32 v116, v134                               // 
v_mov_b32 v133, v85                                // glvw 7 mb 0 tt1 42 r 0
v_mov_b32 v134, v69                                // glvw 7 mb 0 tt1 42 r 0
ds_bpermute_b32 v134, v128, v134, offset:4         // permute edge values
s_waitcnt 0                                        // wait for swizzle operation
v_mov_b32 v69, v133                                // 
v_mov_b32 v85, v134                                // 
v_mov_b32 v133, v117                               // glvw 7 mb 0 tt1 43 r 0
v_mov_b32 v134, v101                               // glvw 7 mb 0 tt1 43 r 0
ds_bpermute_b32 v134, v128, v134, offset:4         // permute edge values
s_waitcnt 0                                        // wait for swizzle operation
v_mov_b32 v101, v133                               // 
v_mov_b32 v117, v134                               // 
v_mov_b32 v133, v86                                // glvw 7 mb 0 tt1 44 r 0
v_mov_b32 v134, v70                                // glvw 7 mb 0 tt1 44 r 0
ds_bpermute_b32 v134, v128, v134, offset:4         // permute edge values
s_waitcnt 0                                        // wait for swizzle operation
v_mov_b32 v70, v133                                // 
v_mov_b32 v86, v134                                // 
	;; [unrolled: 12-line block ×11, first 2 shown]
v_mov_b32 v133, v127                               // glvw 7 mb 0 tt1 63 r 0
v_mov_b32 v134, v111                               // glvw 7 mb 0 tt1 63 r 0
ds_bpermute_b32 v134, v128, v134, offset:4         // permute edge values
s_waitcnt 0                                        // wait for swizzle operation
v_mov_b32 v111, v133                               // 
v_mov_b32 v127, v134                               // 
s_mov_b64 s[32:33], 0xFFFFFFFFFFFFFFFF             // to restore all threads active
s_or_saveexec_b64 vcc, s[32:33]                    // all threads active
s_branch label_0050                                // done shifting

label_0050: // end shift0


/* shift vector components d1 */

v_mov_b32 v129, s[sgprWorkGroup1]                  // 
v_mul_i32_i24 v129, -0x100, v129                   // wg*MT
_v_add_co_u32 v129, vcc, s[sgprSizesFree+1], v129  // wgMT = Size - wg*MT
v_mov_b32 v130, 0x100                              // MT
v_min_u32 v129, v130, v129                         // wgMT = (wgMT < MT) ? wgMT : MT
v_lshrrev_b32 v128, 7, v[vgprSerial]               // v128 = v[vgprSerial] / 128
v_and_b32 v131, 1, v128                            // v131 = v128 % 2
v_lshrrev_b32 v128, 6, v129                        // v128 = v129 / 64
v_and_b32 v132, 1, v128                            // v132 = v128 % 2
v_cmp_eq_u32 s[32:33], v132, v131                  // wave_id == block_belong_to_wave?
v_cndmask_b32 v129, v130, v129, s[32:33]           // wgMT = (wgMT < MT) ? wgMT : MT

/* mbReg: which mb block need to shift, mb(matrixInstCoal(32) * VectorWidth(2)) */
v_lshrrev_b32 v130, 4, v129                        // v130 = v129 / 16
v_lshlrev_b32 v132, 0x2, v131                      // v132 = v131 * 4
_v_sub_u32 v130, v130, v132                        // 

/* gbReg: glvw block id */
v_lshrrev_b32 v132, 3, v129                        // v132 = v129 / 8

/* tgbReg: glvw block id */
v_lshrrev_b32 v128, 5, v[vgprSerial]               // v128 = v[vgprSerial] / 32
v_and_b32 v133, 1, v128                            // v133 = v128 % 2
v_lshlrev_b32 v133, 0x3, v133                      // v133 = v133 * 8
v_lshrrev_b32 v133, 3, v133                        // v133 = v133 / 8
v_lshlrev_b32 v131, 0x3, v131                      // v131 = v131 * 8
_v_add_co_u32 v133, vcc, v131, v133                // tgbReg = (tid_coal * continOut) / GLVW
_v_sub_u32 v132, v132, v133                        // 

/* vwReg: glvw in which vw block? */
v_and_b32 v131, 7, v129                            // permute register between threads
v_lshrrev_b32 v131, 3, v131                        // permute register between threads

/* rReg : reminder of M_size % GlobalLoadVectorWidth */
v_and_b32 v133, 7, v129                            // v133 = v129 % 8
v_cmp_eq_u32 vcc, v133, 0x1                        // wgMT%VW == 1
s_cbranch_vccnz label_0053                         // branch to shift d1 r=1
v_cmp_eq_u32 vcc, v133, 0x2                        // wgMT%VW == 2
s_cbranch_vccnz label_0070                         // branch to shift d1 r=2
v_cmp_eq_u32 vcc, v133, 0x3                        // wgMT%VW == 3
s_cbranch_vccnz label_0087                         // branch to shift d1 r=3
v_cmp_eq_u32 vcc, v133, 0x4                        // wgMT%VW == 4
s_cbranch_vccnz label_0104                         // branch to shift d1 r=4
v_cmp_eq_u32 vcc, v133, 0x5                        // wgMT%VW == 5
s_cbranch_vccnz label_0121                         // branch to shift d1 r=5
v_cmp_eq_u32 vcc, v133, 0x6                        // wgMT%VW == 6
s_cbranch_vccnz label_0138                         // branch to shift d1 r=6
v_cmp_eq_u32 vcc, v133, 0x7                        // wgMT%VW == 7
s_cbranch_vccnz label_0155                         // branch to shift d1 r=7
s_branch label_0172                                // no shifting

/******************************************/
/* shift d1 r=1                           */
/******************************************/
label_0053:
v_cmp_eq_u32 vcc, v130, 0x0                        // 
s_cbranch_vccnz label_0054                         // branch to shift d1 r1 mb0
v_cmp_eq_u32 vcc, v130, 0x1                        // 
s_cbranch_vccnz label_0056                         // branch to shift d1 r1 mb1
v_cmp_eq_u32 vcc, v130, 0x2                        // 
s_cbranch_vccnz label_0058                         // branch to shift d1 r1 mb2
v_cmp_eq_u32 vcc, v130, 0x3                        // 
s_cbranch_vccnz label_0060                         // branch to shift d1 r1 mb3
v_cmp_eq_u32 vcc, v130, 0x8                        // 
s_cbranch_vccnz label_0062                         // branch to shift d1 r1 mb4
v_cmp_eq_u32 vcc, v130, 0x9                        // 
s_cbranch_vccnz label_0064                         // branch to shift d1 r1 mb5
v_cmp_eq_u32 vcc, v130, 0xa                        // 
s_cbranch_vccnz label_0066                         // branch to shift d1 r1 mb6
v_cmp_eq_u32 vcc, v130, 0xb                        // 
s_cbranch_vccnz label_0068                         // branch to shift d1 r1 mb7

/******************************************/
/* shift d1 r=2                           */
/******************************************/
label_0070:
v_cmp_eq_u32 vcc, v130, 0x0                        // 
s_cbranch_vccnz label_0071                         // branch to shift d1 r2 mb0
v_cmp_eq_u32 vcc, v130, 0x1                        // 
s_cbranch_vccnz label_0073                         // branch to shift d1 r2 mb1
v_cmp_eq_u32 vcc, v130, 0x2                        // 
s_cbranch_vccnz label_0075                         // branch to shift d1 r2 mb2
v_cmp_eq_u32 vcc, v130, 0x3                        // 
s_cbranch_vccnz label_0077                         // branch to shift d1 r2 mb3
v_cmp_eq_u32 vcc, v130, 0x8                        // 
s_cbranch_vccnz label_0079                         // branch to shift d1 r2 mb4
v_cmp_eq_u32 vcc, v130, 0x9                        // 
s_cbranch_vccnz label_0081                         // branch to shift d1 r2 mb5
v_cmp_eq_u32 vcc, v130, 0xa                        // 
s_cbranch_vccnz label_0083                         // branch to shift d1 r2 mb6
v_cmp_eq_u32 vcc, v130, 0xb                        // 
s_cbranch_vccnz label_0085                         // branch to shift d1 r2 mb7

/******************************************/
/* shift d1 r=3                           */
/******************************************/
label_0087:
v_cmp_eq_u32 vcc, v130, 0x0                        // 
s_cbranch_vccnz label_0088                         // branch to shift d1 r3 mb0
v_cmp_eq_u32 vcc, v130, 0x1                        // 
s_cbranch_vccnz label_0090                         // branch to shift d1 r3 mb1
v_cmp_eq_u32 vcc, v130, 0x2                        // 
s_cbranch_vccnz label_0092                         // branch to shift d1 r3 mb2
v_cmp_eq_u32 vcc, v130, 0x3                        // 
s_cbranch_vccnz label_0094                         // branch to shift d1 r3 mb3
v_cmp_eq_u32 vcc, v130, 0x8                        // 
s_cbranch_vccnz label_0096                         // branch to shift d1 r3 mb4
v_cmp_eq_u32 vcc, v130, 0x9                        // 
s_cbranch_vccnz label_0098                         // branch to shift d1 r3 mb5
v_cmp_eq_u32 vcc, v130, 0xa                        // 
s_cbranch_vccnz label_0100                         // branch to shift d1 r3 mb6
v_cmp_eq_u32 vcc, v130, 0xb                        // 
s_cbranch_vccnz label_0102                         // branch to shift d1 r3 mb7

/******************************************/
/* shift d1 r=4                           */
/******************************************/
label_0104:
v_cmp_eq_u32 vcc, v130, 0x0                        // 
s_cbranch_vccnz label_0105                         // branch to shift d1 r4 mb0
v_cmp_eq_u32 vcc, v130, 0x1                        // 
s_cbranch_vccnz label_0107                         // branch to shift d1 r4 mb1
v_cmp_eq_u32 vcc, v130, 0x2                        // 
s_cbranch_vccnz label_0109                         // branch to shift d1 r4 mb2
v_cmp_eq_u32 vcc, v130, 0x3                        // 
s_cbranch_vccnz label_0111                         // branch to shift d1 r4 mb3
v_cmp_eq_u32 vcc, v130, 0x8                        // 
s_cbranch_vccnz label_0113                         // branch to shift d1 r4 mb4
v_cmp_eq_u32 vcc, v130, 0x9                        // 
s_cbranch_vccnz label_0115                         // branch to shift d1 r4 mb5
v_cmp_eq_u32 vcc, v130, 0xa                        // 
s_cbranch_vccnz label_0117                         // branch to shift d1 r4 mb6
v_cmp_eq_u32 vcc, v130, 0xb                        // 
s_cbranch_vccnz label_0119                         // branch to shift d1 r4 mb7

/******************************************/
/* shift d1 r=5                           */
/******************************************/
label_0121:
v_cmp_eq_u32 vcc, v130, 0x0                        // 
s_cbranch_vccnz label_0122                         // branch to shift d1 r5 mb0
v_cmp_eq_u32 vcc, v130, 0x1                        // 
s_cbranch_vccnz label_0124                         // branch to shift d1 r5 mb1
v_cmp_eq_u32 vcc, v130, 0x2                        // 
s_cbranch_vccnz label_0126                         // branch to shift d1 r5 mb2
v_cmp_eq_u32 vcc, v130, 0x3                        // 
s_cbranch_vccnz label_0128                         // branch to shift d1 r5 mb3
v_cmp_eq_u32 vcc, v130, 0x8                        // 
s_cbranch_vccnz label_0130                         // branch to shift d1 r5 mb4
v_cmp_eq_u32 vcc, v130, 0x9                        // 
s_cbranch_vccnz label_0132                         // branch to shift d1 r5 mb5
v_cmp_eq_u32 vcc, v130, 0xa                        // 
s_cbranch_vccnz label_0134                         // branch to shift d1 r5 mb6
v_cmp_eq_u32 vcc, v130, 0xb                        // 
s_cbranch_vccnz label_0136                         // branch to shift d1 r5 mb7

/******************************************/
/* shift d1 r=6                           */
/******************************************/
label_0138:
v_cmp_eq_u32 vcc, v130, 0x0                        // 
s_cbranch_vccnz label_0139                         // branch to shift d1 r6 mb0
v_cmp_eq_u32 vcc, v130, 0x1                        // 
s_cbranch_vccnz label_0141                         // branch to shift d1 r6 mb1
v_cmp_eq_u32 vcc, v130, 0x2                        // 
s_cbranch_vccnz label_0143                         // branch to shift d1 r6 mb2
v_cmp_eq_u32 vcc, v130, 0x3                        // 
s_cbranch_vccnz label_0145                         // branch to shift d1 r6 mb3
v_cmp_eq_u32 vcc, v130, 0x8                        // 
s_cbranch_vccnz label_0147                         // branch to shift d1 r6 mb4
v_cmp_eq_u32 vcc, v130, 0x9                        // 
s_cbranch_vccnz label_0149                         // branch to shift d1 r6 mb5
v_cmp_eq_u32 vcc, v130, 0xa                        // 
s_cbranch_vccnz label_0151                         // branch to shift d1 r6 mb6
v_cmp_eq_u32 vcc, v130, 0xb                        // 
s_cbranch_vccnz label_0153                         // branch to shift d1 r6 mb7

/******************************************/
/* shift d1 r=7                           */
/******************************************/
label_0155:
v_cmp_eq_u32 vcc, v130, 0x0                        // 
s_cbranch_vccnz label_0156                         // branch to shift d1 r7 mb0
v_cmp_eq_u32 vcc, v130, 0x1                        // 
s_cbranch_vccnz label_0158                         // branch to shift d1 r7 mb1
v_cmp_eq_u32 vcc, v130, 0x2                        // 
s_cbranch_vccnz label_0160                         // branch to shift d1 r7 mb2
v_cmp_eq_u32 vcc, v130, 0x3                        // 
s_cbranch_vccnz label_0162                         // branch to shift d1 r7 mb3
v_cmp_eq_u32 vcc, v130, 0x8                        // 
s_cbranch_vccnz label_0164                         // branch to shift d1 r7 mb4
v_cmp_eq_u32 vcc, v130, 0x9                        // 
s_cbranch_vccnz label_0166                         // branch to shift d1 r7 mb5
v_cmp_eq_u32 vcc, v130, 0xa                        // 
s_cbranch_vccnz label_0168                         // branch to shift d1 r7 mb6
v_cmp_eq_u32 vcc, v130, 0xb                        // 
s_cbranch_vccnz label_0170                         // branch to shift d1 r7 mb7

/******************************************/
/* shift d1 r=1 mb=0                      */
/******************************************/
label_0054: // r1 mb0 
v_cmp_eq_u32 vcc, v131, 0x0                        // 
s_cbranch_vccnz label_0055                         // branch to shift d1 r1 mb0 vw0

/******************************************/
/* shift d1 r=1 mb=1                      */
/******************************************/
label_0056: // r1 mb1 
v_cmp_eq_u32 vcc, v131, 0x0                        // 
s_cbranch_vccnz label_0057                         // branch to shift d1 r1 mb1 vw0

/******************************************/
/* shift d1 r=1 mb=2                      */
/******************************************/
label_0058: // r1 mb2 
v_cmp_eq_u32 vcc, v131, 0x0                        // 
s_cbranch_vccnz label_0059                         // branch to shift d1 r1 mb2 vw0

/******************************************/
/* shift d1 r=1 mb=3                      */
/******************************************/
label_0060: // r1 mb3 
v_cmp_eq_u32 vcc, v131, 0x0                        // 
s_cbranch_vccnz label_0061                         // branch to shift d1 r1 mb3 vw0

/******************************************/
/* shift d1 r=1 mb=4                      */
/******************************************/
label_0062: // r1 mb4 
v_cmp_eq_u32 vcc, v131, 0x0                        // 
s_cbranch_vccnz label_0063                         // branch to shift d1 r1 mb4 vw0

/******************************************/
/* shift d1 r=1 mb=5                      */
/******************************************/
label_0064: // r1 mb5 
v_cmp_eq_u32 vcc, v131, 0x0                        // 
s_cbranch_vccnz label_0065                         // branch to shift d1 r1 mb5 vw0

/******************************************/
/* shift d1 r=1 mb=6                      */
/******************************************/
label_0066: // r1 mb6 
v_cmp_eq_u32 vcc, v131, 0x0                        // 
s_cbranch_vccnz label_0067                         // branch to shift d1 r1 mb6 vw0

/******************************************/
/* shift d1 r=1 mb=7                      */
/******************************************/
label_0068: // r1 mb7 
v_cmp_eq_u32 vcc, v131, 0x0                        // 
s_cbranch_vccnz label_0069                         // branch to shift d1 r1 mb7 vw0

/******************************************/
/* shift d1 r=2 mb=0                      */
/******************************************/
label_0071: // r2 mb0 
v_cmp_eq_u32 vcc, v131, 0x0                        // 
s_cbranch_vccnz label_0072                         // branch to shift d1 r2 mb0 vw0

/******************************************/
/* shift d1 r=2 mb=1                      */
/******************************************/
label_0073: // r2 mb1 
v_cmp_eq_u32 vcc, v131, 0x0                        // 
s_cbranch_vccnz label_0074                         // branch to shift d1 r2 mb1 vw0

/******************************************/
/* shift d1 r=2 mb=2                      */
/******************************************/
label_0075: // r2 mb2 
v_cmp_eq_u32 vcc, v131, 0x0                        // 
s_cbranch_vccnz label_0076                         // branch to shift d1 r2 mb2 vw0

/******************************************/
/* shift d1 r=2 mb=3                      */
/******************************************/
label_0077: // r2 mb3 
v_cmp_eq_u32 vcc, v131, 0x0                        // 
s_cbranch_vccnz label_0078                         // branch to shift d1 r2 mb3 vw0

/******************************************/
/* shift d1 r=2 mb=4                      */
/******************************************/
label_0079: // r2 mb4 
v_cmp_eq_u32 vcc, v131, 0x0                        // 
s_cbranch_vccnz label_0080                         // branch to shift d1 r2 mb4 vw0

/******************************************/
/* shift d1 r=2 mb=5                      */
/******************************************/
label_0081: // r2 mb5 
v_cmp_eq_u32 vcc, v131, 0x0                        // 
s_cbranch_vccnz label_0082                         // branch to shift d1 r2 mb5 vw0

/******************************************/
/* shift d1 r=2 mb=6                      */
/******************************************/
label_0083: // r2 mb6 
v_cmp_eq_u32 vcc, v131, 0x0                        // 
s_cbranch_vccnz label_0084                         // branch to shift d1 r2 mb6 vw0

/******************************************/
/* shift d1 r=2 mb=7                      */
/******************************************/
label_0085: // r2 mb7 
v_cmp_eq_u32 vcc, v131, 0x0                        // 
s_cbranch_vccnz label_0086                         // branch to shift d1 r2 mb7 vw0

/******************************************/
/* shift d1 r=3 mb=0                      */
/******************************************/
label_0088: // r3 mb0 
v_cmp_eq_u32 vcc, v131, 0x0                        // 
s_cbranch_vccnz label_0089                         // branch to shift d1 r3 mb0 vw0

/******************************************/
/* shift d1 r=3 mb=1                      */
/******************************************/
label_0090: // r3 mb1 
v_cmp_eq_u32 vcc, v131, 0x0                        // 
s_cbranch_vccnz label_0091                         // branch to shift d1 r3 mb1 vw0

/******************************************/
/* shift d1 r=3 mb=2                      */
/******************************************/
label_0092: // r3 mb2 
v_cmp_eq_u32 vcc, v131, 0x0                        // 
s_cbranch_vccnz label_0093                         // branch to shift d1 r3 mb2 vw0

/******************************************/
/* shift d1 r=3 mb=3                      */
/******************************************/
label_0094: // r3 mb3 
v_cmp_eq_u32 vcc, v131, 0x0                        // 
s_cbranch_vccnz label_0095                         // branch to shift d1 r3 mb3 vw0

/******************************************/
/* shift d1 r=3 mb=4                      */
/******************************************/
label_0096: // r3 mb4 
v_cmp_eq_u32 vcc, v131, 0x0                        // 
s_cbranch_vccnz label_0097                         // branch to shift d1 r3 mb4 vw0

/******************************************/
/* shift d1 r=3 mb=5                      */
/******************************************/
label_0098: // r3 mb5 
v_cmp_eq_u32 vcc, v131, 0x0                        // 
s_cbranch_vccnz label_0099                         // branch to shift d1 r3 mb5 vw0

/******************************************/
/* shift d1 r=3 mb=6                      */
/******************************************/
label_0100: // r3 mb6 
v_cmp_eq_u32 vcc, v131, 0x0                        // 
s_cbranch_vccnz label_0101                         // branch to shift d1 r3 mb6 vw0

/******************************************/
/* shift d1 r=3 mb=7                      */
/******************************************/
label_0102: // r3 mb7 
v_cmp_eq_u32 vcc, v131, 0x0                        // 
s_cbranch_vccnz label_0103                         // branch to shift d1 r3 mb7 vw0

/******************************************/
/* shift d1 r=4 mb=0                      */
/******************************************/
label_0105: // r4 mb0 
v_cmp_eq_u32 vcc, v131, 0x0                        // 
s_cbranch_vccnz label_0106                         // branch to shift d1 r4 mb0 vw0

/******************************************/
/* shift d1 r=4 mb=1                      */
/******************************************/
label_0107: // r4 mb1 
v_cmp_eq_u32 vcc, v131, 0x0                        // 
s_cbranch_vccnz label_0108                         // branch to shift d1 r4 mb1 vw0

/******************************************/
/* shift d1 r=4 mb=2                      */
/******************************************/
label_0109: // r4 mb2 
v_cmp_eq_u32 vcc, v131, 0x0                        // 
s_cbranch_vccnz label_0110                         // branch to shift d1 r4 mb2 vw0

/******************************************/
/* shift d1 r=4 mb=3                      */
/******************************************/
label_0111: // r4 mb3 
v_cmp_eq_u32 vcc, v131, 0x0                        // 
s_cbranch_vccnz label_0112                         // branch to shift d1 r4 mb3 vw0

/******************************************/
/* shift d1 r=4 mb=4                      */
/******************************************/
label_0113: // r4 mb4 
v_cmp_eq_u32 vcc, v131, 0x0                        // 
s_cbranch_vccnz label_0114                         // branch to shift d1 r4 mb4 vw0

/******************************************/
/* shift d1 r=4 mb=5                      */
/******************************************/
label_0115: // r4 mb5 
v_cmp_eq_u32 vcc, v131, 0x0                        // 
s_cbranch_vccnz label_0116                         // branch to shift d1 r4 mb5 vw0

/******************************************/
/* shift d1 r=4 mb=6                      */
/******************************************/
label_0117: // r4 mb6 
v_cmp_eq_u32 vcc, v131, 0x0                        // 
s_cbranch_vccnz label_0118                         // branch to shift d1 r4 mb6 vw0

/******************************************/
/* shift d1 r=4 mb=7                      */
/******************************************/
label_0119: // r4 mb7 
v_cmp_eq_u32 vcc, v131, 0x0                        // 
s_cbranch_vccnz label_0120                         // branch to shift d1 r4 mb7 vw0

/******************************************/
/* shift d1 r=5 mb=0                      */
/******************************************/
label_0122: // r5 mb0 
v_cmp_eq_u32 vcc, v131, 0x0                        // 
s_cbranch_vccnz label_0123                         // branch to shift d1 r5 mb0 vw0

/******************************************/
/* shift d1 r=5 mb=1                      */
/******************************************/
label_0124: // r5 mb1 
v_cmp_eq_u32 vcc, v131, 0x0                        // 
s_cbranch_vccnz label_0125                         // branch to shift d1 r5 mb1 vw0

/******************************************/
/* shift d1 r=5 mb=2                      */
/******************************************/
label_0126: // r5 mb2 
v_cmp_eq_u32 vcc, v131, 0x0                        // 
s_cbranch_vccnz label_0127                         // branch to shift d1 r5 mb2 vw0

/******************************************/
/* shift d1 r=5 mb=3                      */
/******************************************/
label_0128: // r5 mb3 
v_cmp_eq_u32 vcc, v131, 0x0                        // 
s_cbranch_vccnz label_0129                         // branch to shift d1 r5 mb3 vw0

/******************************************/
/* shift d1 r=5 mb=4                      */
/******************************************/
label_0130: // r5 mb4 
v_cmp_eq_u32 vcc, v131, 0x0                        // 
s_cbranch_vccnz label_0131                         // branch to shift d1 r5 mb4 vw0

/******************************************/
/* shift d1 r=5 mb=5                      */
/******************************************/
label_0132: // r5 mb5 
v_cmp_eq_u32 vcc, v131, 0x0                        // 
s_cbranch_vccnz label_0133                         // branch to shift d1 r5 mb5 vw0

/******************************************/
/* shift d1 r=5 mb=6                      */
/******************************************/
label_0134: // r5 mb6 
v_cmp_eq_u32 vcc, v131, 0x0                        // 
s_cbranch_vccnz label_0135                         // branch to shift d1 r5 mb6 vw0

/******************************************/
/* shift d1 r=5 mb=7                      */
/******************************************/
label_0136: // r5 mb7 
v_cmp_eq_u32 vcc, v131, 0x0                        // 
s_cbranch_vccnz label_0137                         // branch to shift d1 r5 mb7 vw0

/******************************************/
/* shift d1 r=6 mb=0                      */
/******************************************/
label_0139: // r6 mb0 
v_cmp_eq_u32 vcc, v131, 0x0                        // 
s_cbranch_vccnz label_0140                         // branch to shift d1 r6 mb0 vw0

/******************************************/
/* shift d1 r=6 mb=1                      */
/******************************************/
label_0141: // r6 mb1 
v_cmp_eq_u32 vcc, v131, 0x0                        // 
s_cbranch_vccnz label_0142                         // branch to shift d1 r6 mb1 vw0

/******************************************/
/* shift d1 r=6 mb=2                      */
/******************************************/
label_0143: // r6 mb2 
v_cmp_eq_u32 vcc, v131, 0x0                        // 
s_cbranch_vccnz label_0144                         // branch to shift d1 r6 mb2 vw0

/******************************************/
/* shift d1 r=6 mb=3                      */
/******************************************/
label_0145: // r6 mb3 
v_cmp_eq_u32 vcc, v131, 0x0                        // 
s_cbranch_vccnz label_0146                         // branch to shift d1 r6 mb3 vw0

/******************************************/
/* shift d1 r=6 mb=4                      */
/******************************************/
label_0147: // r6 mb4 
v_cmp_eq_u32 vcc, v131, 0x0                        // 
s_cbranch_vccnz label_0148                         // branch to shift d1 r6 mb4 vw0

/******************************************/
/* shift d1 r=6 mb=5                      */
/******************************************/
label_0149: // r6 mb5 
v_cmp_eq_u32 vcc, v131, 0x0                        // 
s_cbranch_vccnz label_0150                         // branch to shift d1 r6 mb5 vw0

/******************************************/
/* shift d1 r=6 mb=6                      */
/******************************************/
label_0151: // r6 mb6 
v_cmp_eq_u32 vcc, v131, 0x0                        // 
s_cbranch_vccnz label_0152                         // branch to shift d1 r6 mb6 vw0

/******************************************/
/* shift d1 r=6 mb=7                      */
/******************************************/
label_0153: // r6 mb7 
v_cmp_eq_u32 vcc, v131, 0x0                        // 
s_cbranch_vccnz label_0154                         // branch to shift d1 r6 mb7 vw0

/******************************************/
/* shift d1 r=7 mb=0                      */
/******************************************/
label_0156: // r7 mb0 
v_cmp_eq_u32 vcc, v131, 0x0                        // 
s_cbranch_vccnz label_0157                         // branch to shift d1 r7 mb0 vw0

/******************************************/
/* shift d1 r=7 mb=1                      */
/******************************************/
label_0158: // r7 mb1 
v_cmp_eq_u32 vcc, v131, 0x0                        // 
s_cbranch_vccnz label_0159                         // branch to shift d1 r7 mb1 vw0

/******************************************/
/* shift d1 r=7 mb=2                      */
/******************************************/
label_0160: // r7 mb2 
v_cmp_eq_u32 vcc, v131, 0x0                        // 
s_cbranch_vccnz label_0161                         // branch to shift d1 r7 mb2 vw0

/******************************************/
/* shift d1 r=7 mb=3                      */
/******************************************/
label_0162: // r7 mb3 
v_cmp_eq_u32 vcc, v131, 0x0                        // 
s_cbranch_vccnz label_0163                         // branch to shift d1 r7 mb3 vw0

/******************************************/
/* shift d1 r=7 mb=4                      */
/******************************************/
label_0164: // r7 mb4 
v_cmp_eq_u32 vcc, v131, 0x0                        // 
s_cbranch_vccnz label_0165                         // branch to shift d1 r7 mb4 vw0

/******************************************/
/* shift d1 r=7 mb=5                      */
/******************************************/
label_0166: // r7 mb5 
v_cmp_eq_u32 vcc, v131, 0x0                        // 
s_cbranch_vccnz label_0167                         // branch to shift d1 r7 mb5 vw0

/******************************************/
/* shift d1 r=7 mb=6                      */
/******************************************/
label_0168: // r7 mb6 
v_cmp_eq_u32 vcc, v131, 0x0                        // 
s_cbranch_vccnz label_0169                         // branch to shift d1 r7 mb6 vw0

/******************************************/
/* shift d1 r=7 mb=7                      */
/******************************************/
label_0170: // r7 mb7 
v_cmp_eq_u32 vcc, v131, 0x0                        // 
s_cbranch_vccnz label_0171                         // branch to shift d1 r7 mb7 vw0

/******************************************/
/* shift d1 r=1 mb=0 vw0                  */
/******************************************/
label_0055: // r1 mb0 vw0 
s_mov_b32 s32, 0                                   // 
_v_cmpx_eq_u32 s[32:33], v132, s32                 // is thread in edge glvw region
v_and_b32 v128, 63, v[vgprSerial]                  // permute register between threads
v_lshlrev_b32 v128, 2, v128                        // permute register between threads
v_mov_b32 v133, v35                                // glvw 1 mb 0 tt1 0 r 0
v_mov_b32 v0, v133                                 // 
v_mov_b32 v133, v51                                // glvw 1 mb 0 tt1 1 r 0
v_mov_b32 v16, v133                                // 
s_mov_b64 s[32:33], 0xFFFFFFFFFFFFFFFF             // to restore all threads active
s_or_saveexec_b64 vcc, s[32:33]                    // all threads active
s_branch label_0172                                // done shifting


/******************************************/
/* shift d1 r=1 mb=1 vw0                  */
/******************************************/
label_0057: // r1 mb1 vw0 
s_mov_b32 s32, 2                                   // 
_v_cmpx_eq_u32 s[32:33], v132, s32                 // is thread in edge glvw region
v_and_b32 v128, 63, v[vgprSerial]                  // permute register between threads
v_lshlrev_b32 v128, 2, v128                        // permute register between threads
v_mov_b32 v133, v39                                // glvw 1 mb 1 tt1 0 r 0
v_mov_b32 v4, v133                                 // 
v_mov_b32 v133, v55                                // glvw 1 mb 1 tt1 1 r 0
v_mov_b32 v20, v133                                // 
s_mov_b64 s[32:33], 0xFFFFFFFFFFFFFFFF             // to restore all threads active
s_or_saveexec_b64 vcc, s[32:33]                    // all threads active
s_branch label_0172                                // done shifting


/******************************************/
/* shift d1 r=1 mb=2 vw0                  */
/******************************************/
label_0059: // r1 mb2 vw0 
s_mov_b32 s32, 4                                   // 
_v_cmpx_eq_u32 s[32:33], v132, s32                 // is thread in edge glvw region
v_and_b32 v128, 63, v[vgprSerial]                  // permute register between threads
v_lshlrev_b32 v128, 2, v128                        // permute register between threads
v_mov_b32 v133, v43                                // glvw 1 mb 2 tt1 0 r 0
v_mov_b32 v8, v133                                 // 
v_mov_b32 v133, v59                                // glvw 1 mb 2 tt1 1 r 0
v_mov_b32 v24, v133                                // 
s_mov_b64 s[32:33], 0xFFFFFFFFFFFFFFFF             // to restore all threads active
s_or_saveexec_b64 vcc, s[32:33]                    // all threads active
s_branch label_0172                                // done shifting


/******************************************/
/* shift d1 r=1 mb=3 vw0                  */
/******************************************/
label_0061: // r1 mb3 vw0 
s_mov_b32 s32, 6                                   // 
_v_cmpx_eq_u32 s[32:33], v132, s32                 // is thread in edge glvw region
v_and_b32 v128, 63, v[vgprSerial]                  // permute register between threads
v_lshlrev_b32 v128, 2, v128                        // permute register between threads
v_mov_b32 v133, v47                                // glvw 1 mb 3 tt1 0 r 0
v_mov_b32 v12, v133                                // 
v_mov_b32 v133, v63                                // glvw 1 mb 3 tt1 1 r 0
v_mov_b32 v28, v133                                // 
s_mov_b64 s[32:33], 0xFFFFFFFFFFFFFFFF             // to restore all threads active
s_or_saveexec_b64 vcc, s[32:33]                    // all threads active
s_branch label_0172                                // done shifting


/******************************************/
/* shift d1 r=1 mb=4 vw0                  */
/******************************************/
label_0063: // r1 mb4 vw0 
s_mov_b32 s32, 16                                  // 
_v_cmpx_eq_u32 s[32:33], v132, s32                 // is thread in edge glvw region
v_and_b32 v128, 63, v[vgprSerial]                  // permute register between threads
v_lshlrev_b32 v128, 2, v128                        // permute register between threads
v_mov_b32 v133, v99                                // glvw 1 mb 4 tt1 0 r 0
v_mov_b32 v64, v133                                // 
v_mov_b32 v133, v115                               // glvw 1 mb 4 tt1 1 r 0
v_mov_b32 v80, v133                                // 
s_mov_b64 s[32:33], 0xFFFFFFFFFFFFFFFF             // to restore all threads active
s_or_saveexec_b64 vcc, s[32:33]                    // all threads active
s_branch label_0172                                // done shifting


/******************************************/
/* shift d1 r=1 mb=5 vw0                  */
/******************************************/
label_0065: // r1 mb5 vw0 
s_mov_b32 s32, 18                                  // 
_v_cmpx_eq_u32 s[32:33], v132, s32                 // is thread in edge glvw region
v_and_b32 v128, 63, v[vgprSerial]                  // permute register between threads
v_lshlrev_b32 v128, 2, v128                        // permute register between threads
v_mov_b32 v133, v103                               // glvw 1 mb 5 tt1 0 r 0
v_mov_b32 v68, v133                                // 
v_mov_b32 v133, v119                               // glvw 1 mb 5 tt1 1 r 0
v_mov_b32 v84, v133                                // 
s_mov_b64 s[32:33], 0xFFFFFFFFFFFFFFFF             // to restore all threads active
s_or_saveexec_b64 vcc, s[32:33]                    // all threads active
s_branch label_0172                                // done shifting


/******************************************/
/* shift d1 r=1 mb=6 vw0                  */
/******************************************/
label_0067: // r1 mb6 vw0 
s_mov_b32 s32, 20                                  // 
_v_cmpx_eq_u32 s[32:33], v132, s32                 // is thread in edge glvw region
v_and_b32 v128, 63, v[vgprSerial]                  // permute register between threads
v_lshlrev_b32 v128, 2, v128                        // permute register between threads
v_mov_b32 v133, v107                               // glvw 1 mb 6 tt1 0 r 0
v_mov_b32 v72, v133                                // 
v_mov_b32 v133, v123                               // glvw 1 mb 6 tt1 1 r 0
v_mov_b32 v88, v133                                // 
s_mov_b64 s[32:33], 0xFFFFFFFFFFFFFFFF             // to restore all threads active
s_or_saveexec_b64 vcc, s[32:33]                    // all threads active
s_branch label_0172                                // done shifting


/******************************************/
/* shift d1 r=1 mb=7 vw0                  */
/******************************************/
label_0069: // r1 mb7 vw0 
s_mov_b32 s32, 22                                  // 
_v_cmpx_eq_u32 s[32:33], v132, s32                 // is thread in edge glvw region
v_and_b32 v128, 63, v[vgprSerial]                  // permute register between threads
v_lshlrev_b32 v128, 2, v128                        // permute register between threads
v_mov_b32 v133, v111                               // glvw 1 mb 7 tt1 0 r 0
v_mov_b32 v76, v133                                // 
v_mov_b32 v133, v127                               // glvw 1 mb 7 tt1 1 r 0
v_mov_b32 v92, v133                                // 
s_mov_b64 s[32:33], 0xFFFFFFFFFFFFFFFF             // to restore all threads active
s_or_saveexec_b64 vcc, s[32:33]                    // all threads active
s_branch label_0172                                // done shifting


/******************************************/
/* shift d1 r=2 mb=0 vw0                  */
/******************************************/
label_0072: // r2 mb0 vw0 
s_mov_b32 s32, 0                                   // 
_v_cmpx_eq_u32 s[32:33], v132, s32                 // is thread in edge glvw region
v_and_b32 v128, 63, v[vgprSerial]                  // permute register between threads
v_lshlrev_b32 v128, 2, v128                        // permute register between threads
v_mov_b32 v133, v3                                 // glvw 2 mb 0 tt1 0 r 0
v_mov_b32 v134, v35                                // glvw 2 mb 0 tt1 0 r 0
v_mov_b32 v0, v133                                 // 
v_mov_b32 v32, v134                                // 
v_mov_b32 v133, v19                                // glvw 2 mb 0 tt1 1 r 0
v_mov_b32 v134, v51                                // glvw 2 mb 0 tt1 1 r 0
v_mov_b32 v16, v133                                // 
v_mov_b32 v48, v134                                // 
s_mov_b64 s[32:33], 0xFFFFFFFFFFFFFFFF             // to restore all threads active
s_or_saveexec_b64 vcc, s[32:33]                    // all threads active
s_branch label_0172                                // done shifting


/******************************************/
/* shift d1 r=2 mb=1 vw0                  */
/******************************************/
label_0074: // r2 mb1 vw0 
s_mov_b32 s32, 2                                   // 
_v_cmpx_eq_u32 s[32:33], v132, s32                 // is thread in edge glvw region
v_and_b32 v128, 63, v[vgprSerial]                  // permute register between threads
v_lshlrev_b32 v128, 2, v128                        // permute register between threads
v_mov_b32 v133, v7                                 // glvw 2 mb 1 tt1 0 r 0
v_mov_b32 v134, v39                                // glvw 2 mb 1 tt1 0 r 0
v_mov_b32 v4, v133                                 // 
v_mov_b32 v36, v134                                // 
v_mov_b32 v133, v23                                // glvw 2 mb 1 tt1 1 r 0
v_mov_b32 v134, v55                                // glvw 2 mb 1 tt1 1 r 0
v_mov_b32 v20, v133                                // 
v_mov_b32 v52, v134                                // 
s_mov_b64 s[32:33], 0xFFFFFFFFFFFFFFFF             // to restore all threads active
s_or_saveexec_b64 vcc, s[32:33]                    // all threads active
s_branch label_0172                                // done shifting


/******************************************/
/* shift d1 r=2 mb=2 vw0                  */
/******************************************/
label_0076: // r2 mb2 vw0 
s_mov_b32 s32, 4                                   // 
_v_cmpx_eq_u32 s[32:33], v132, s32                 // is thread in edge glvw region
v_and_b32 v128, 63, v[vgprSerial]                  // permute register between threads
v_lshlrev_b32 v128, 2, v128                        // permute register between threads
v_mov_b32 v133, v11                                // glvw 2 mb 2 tt1 0 r 0
v_mov_b32 v134, v43                                // glvw 2 mb 2 tt1 0 r 0
v_mov_b32 v8, v133                                 // 
v_mov_b32 v40, v134                                // 
v_mov_b32 v133, v27                                // glvw 2 mb 2 tt1 1 r 0
v_mov_b32 v134, v59                                // glvw 2 mb 2 tt1 1 r 0
v_mov_b32 v24, v133                                // 
v_mov_b32 v56, v134                                // 
s_mov_b64 s[32:33], 0xFFFFFFFFFFFFFFFF             // to restore all threads active
s_or_saveexec_b64 vcc, s[32:33]                    // all threads active
s_branch label_0172                                // done shifting


/******************************************/
/* shift d1 r=2 mb=3 vw0                  */
/******************************************/
label_0078: // r2 mb3 vw0 
s_mov_b32 s32, 6                                   // 
_v_cmpx_eq_u32 s[32:33], v132, s32                 // is thread in edge glvw region
v_and_b32 v128, 63, v[vgprSerial]                  // permute register between threads
v_lshlrev_b32 v128, 2, v128                        // permute register between threads
v_mov_b32 v133, v15                                // glvw 2 mb 3 tt1 0 r 0
v_mov_b32 v134, v47                                // glvw 2 mb 3 tt1 0 r 0
v_mov_b32 v12, v133                                // 
v_mov_b32 v44, v134                                // 
v_mov_b32 v133, v31                                // glvw 2 mb 3 tt1 1 r 0
v_mov_b32 v134, v63                                // glvw 2 mb 3 tt1 1 r 0
v_mov_b32 v28, v133                                // 
v_mov_b32 v60, v134                                // 
s_mov_b64 s[32:33], 0xFFFFFFFFFFFFFFFF             // to restore all threads active
s_or_saveexec_b64 vcc, s[32:33]                    // all threads active
s_branch label_0172                                // done shifting


/******************************************/
/* shift d1 r=2 mb=4 vw0                  */
/******************************************/
label_0080: // r2 mb4 vw0 
s_mov_b32 s32, 16                                  // 
_v_cmpx_eq_u32 s[32:33], v132, s32                 // is thread in edge glvw region
v_and_b32 v128, 63, v[vgprSerial]                  // permute register between threads
v_lshlrev_b32 v128, 2, v128                        // permute register between threads
v_mov_b32 v133, v67                                // glvw 2 mb 4 tt1 0 r 0
v_mov_b32 v134, v99                                // glvw 2 mb 4 tt1 0 r 0
v_mov_b32 v64, v133                                // 
v_mov_b32 v96, v134                                // 
v_mov_b32 v133, v83                                // glvw 2 mb 4 tt1 1 r 0
v_mov_b32 v134, v115                               // glvw 2 mb 4 tt1 1 r 0
v_mov_b32 v80, v133                                // 
v_mov_b32 v112, v134                               // 
s_mov_b64 s[32:33], 0xFFFFFFFFFFFFFFFF             // to restore all threads active
s_or_saveexec_b64 vcc, s[32:33]                    // all threads active
s_branch label_0172                                // done shifting


/******************************************/
/* shift d1 r=2 mb=5 vw0                  */
/******************************************/
label_0082: // r2 mb5 vw0 
s_mov_b32 s32, 18                                  // 
_v_cmpx_eq_u32 s[32:33], v132, s32                 // is thread in edge glvw region
v_and_b32 v128, 63, v[vgprSerial]                  // permute register between threads
v_lshlrev_b32 v128, 2, v128                        // permute register between threads
v_mov_b32 v133, v71                                // glvw 2 mb 5 tt1 0 r 0
v_mov_b32 v134, v103                               // glvw 2 mb 5 tt1 0 r 0
v_mov_b32 v68, v133                                // 
v_mov_b32 v100, v134                               // 
v_mov_b32 v133, v87                                // glvw 2 mb 5 tt1 1 r 0
v_mov_b32 v134, v119                               // glvw 2 mb 5 tt1 1 r 0
v_mov_b32 v84, v133                                // 
v_mov_b32 v116, v134                               // 
s_mov_b64 s[32:33], 0xFFFFFFFFFFFFFFFF             // to restore all threads active
s_or_saveexec_b64 vcc, s[32:33]                    // all threads active
s_branch label_0172                                // done shifting


/******************************************/
/* shift d1 r=2 mb=6 vw0                  */
/******************************************/
label_0084: // r2 mb6 vw0 
s_mov_b32 s32, 20                                  // 
_v_cmpx_eq_u32 s[32:33], v132, s32                 // is thread in edge glvw region
v_and_b32 v128, 63, v[vgprSerial]                  // permute register between threads
v_lshlrev_b32 v128, 2, v128                        // permute register between threads
v_mov_b32 v133, v75                                // glvw 2 mb 6 tt1 0 r 0
v_mov_b32 v134, v107                               // glvw 2 mb 6 tt1 0 r 0
v_mov_b32 v72, v133                                // 
v_mov_b32 v104, v134                               // 
v_mov_b32 v133, v91                                // glvw 2 mb 6 tt1 1 r 0
v_mov_b32 v134, v123                               // glvw 2 mb 6 tt1 1 r 0
v_mov_b32 v88, v133                                // 
v_mov_b32 v120, v134                               // 
s_mov_b64 s[32:33], 0xFFFFFFFFFFFFFFFF             // to restore all threads active
s_or_saveexec_b64 vcc, s[32:33]                    // all threads active
s_branch label_0172                                // done shifting


/******************************************/
/* shift d1 r=2 mb=7 vw0                  */
/******************************************/
label_0086: // r2 mb7 vw0 
s_mov_b32 s32, 22                                  // 
_v_cmpx_eq_u32 s[32:33], v132, s32                 // is thread in edge glvw region
v_and_b32 v128, 63, v[vgprSerial]                  // permute register between threads
v_lshlrev_b32 v128, 2, v128                        // permute register between threads
v_mov_b32 v133, v79                                // glvw 2 mb 7 tt1 0 r 0
v_mov_b32 v134, v111                               // glvw 2 mb 7 tt1 0 r 0
v_mov_b32 v76, v133                                // 
v_mov_b32 v108, v134                               // 
v_mov_b32 v133, v95                                // glvw 2 mb 7 tt1 1 r 0
v_mov_b32 v134, v127                               // glvw 2 mb 7 tt1 1 r 0
v_mov_b32 v92, v133                                // 
v_mov_b32 v124, v134                               // 
s_mov_b64 s[32:33], 0xFFFFFFFFFFFFFFFF             // to restore all threads active
s_or_saveexec_b64 vcc, s[32:33]                    // all threads active
s_branch label_0172                                // done shifting


/******************************************/
/* shift d1 r=3 mb=0 vw0                  */
/******************************************/
label_0089: // r3 mb0 vw0 
s_mov_b32 s32, 0                                   // 
_v_cmpx_eq_u32 s[32:33], v132, s32                 // is thread in edge glvw region
v_and_b32 v128, 63, v[vgprSerial]                  // permute register between threads
v_lshlrev_b32 v128, 2, v128                        // permute register between threads
v_mov_b32 v133, v34                                // glvw 3 mb 0 tt1 0 r 0
v_mov_b32 v134, v3                                 // glvw 3 mb 0 tt1 0 r 0
v_mov_b32 v135, v35                                // glvw 3 mb 0 tt1 0 r 0
v_mov_b32 v0, v133                                 // 
v_mov_b32 v32, v134                                // 
v_mov_b32 v1, v135                                 // 
v_mov_b32 v133, v50                                // glvw 3 mb 0 tt1 1 r 0
v_mov_b32 v134, v19                                // glvw 3 mb 0 tt1 1 r 0
	;; [unrolled: 1-line block ×3, first 2 shown]
v_mov_b32 v16, v133                                // 
v_mov_b32 v48, v134                                // 
	;; [unrolled: 1-line block ×3, first 2 shown]
s_mov_b64 s[32:33], 0xFFFFFFFFFFFFFFFF             // to restore all threads active
s_or_saveexec_b64 vcc, s[32:33]                    // all threads active
s_branch label_0172                                // done shifting


/******************************************/
/* shift d1 r=3 mb=1 vw0                  */
/******************************************/
label_0091: // r3 mb1 vw0 
s_mov_b32 s32, 2                                   // 
_v_cmpx_eq_u32 s[32:33], v132, s32                 // is thread in edge glvw region
v_and_b32 v128, 63, v[vgprSerial]                  // permute register between threads
v_lshlrev_b32 v128, 2, v128                        // permute register between threads
v_mov_b32 v133, v38                                // glvw 3 mb 1 tt1 0 r 0
v_mov_b32 v134, v7                                 // glvw 3 mb 1 tt1 0 r 0
v_mov_b32 v135, v39                                // glvw 3 mb 1 tt1 0 r 0
v_mov_b32 v4, v133                                 // 
v_mov_b32 v36, v134                                // 
v_mov_b32 v5, v135                                 // 
v_mov_b32 v133, v54                                // glvw 3 mb 1 tt1 1 r 0
v_mov_b32 v134, v23                                // glvw 3 mb 1 tt1 1 r 0
	;; [unrolled: 1-line block ×3, first 2 shown]
v_mov_b32 v20, v133                                // 
v_mov_b32 v52, v134                                // 
	;; [unrolled: 1-line block ×3, first 2 shown]
s_mov_b64 s[32:33], 0xFFFFFFFFFFFFFFFF             // to restore all threads active
s_or_saveexec_b64 vcc, s[32:33]                    // all threads active
s_branch label_0172                                // done shifting


/******************************************/
/* shift d1 r=3 mb=2 vw0                  */
/******************************************/
label_0093: // r3 mb2 vw0 
s_mov_b32 s32, 4                                   // 
_v_cmpx_eq_u32 s[32:33], v132, s32                 // is thread in edge glvw region
v_and_b32 v128, 63, v[vgprSerial]                  // permute register between threads
v_lshlrev_b32 v128, 2, v128                        // permute register between threads
v_mov_b32 v133, v42                                // glvw 3 mb 2 tt1 0 r 0
v_mov_b32 v134, v11                                // glvw 3 mb 2 tt1 0 r 0
	;; [unrolled: 1-line block ×3, first 2 shown]
v_mov_b32 v8, v133                                 // 
v_mov_b32 v40, v134                                // 
v_mov_b32 v9, v135                                 // 
v_mov_b32 v133, v58                                // glvw 3 mb 2 tt1 1 r 0
v_mov_b32 v134, v27                                // glvw 3 mb 2 tt1 1 r 0
v_mov_b32 v135, v59                                // glvw 3 mb 2 tt1 1 r 0
v_mov_b32 v24, v133                                // 
v_mov_b32 v56, v134                                // 
	;; [unrolled: 1-line block ×3, first 2 shown]
s_mov_b64 s[32:33], 0xFFFFFFFFFFFFFFFF             // to restore all threads active
s_or_saveexec_b64 vcc, s[32:33]                    // all threads active
s_branch label_0172                                // done shifting


/******************************************/
/* shift d1 r=3 mb=3 vw0                  */
/******************************************/
label_0095: // r3 mb3 vw0 
s_mov_b32 s32, 6                                   // 
_v_cmpx_eq_u32 s[32:33], v132, s32                 // is thread in edge glvw region
v_and_b32 v128, 63, v[vgprSerial]                  // permute register between threads
v_lshlrev_b32 v128, 2, v128                        // permute register between threads
v_mov_b32 v133, v46                                // glvw 3 mb 3 tt1 0 r 0
v_mov_b32 v134, v15                                // glvw 3 mb 3 tt1 0 r 0
	;; [unrolled: 1-line block ×3, first 2 shown]
v_mov_b32 v12, v133                                // 
v_mov_b32 v44, v134                                // 
	;; [unrolled: 1-line block ×3, first 2 shown]
v_mov_b32 v133, v62                                // glvw 3 mb 3 tt1 1 r 0
v_mov_b32 v134, v31                                // glvw 3 mb 3 tt1 1 r 0
	;; [unrolled: 1-line block ×3, first 2 shown]
v_mov_b32 v28, v133                                // 
v_mov_b32 v60, v134                                // 
	;; [unrolled: 1-line block ×3, first 2 shown]
s_mov_b64 s[32:33], 0xFFFFFFFFFFFFFFFF             // to restore all threads active
s_or_saveexec_b64 vcc, s[32:33]                    // all threads active
s_branch label_0172                                // done shifting


/******************************************/
/* shift d1 r=3 mb=4 vw0                  */
/******************************************/
label_0097: // r3 mb4 vw0 
s_mov_b32 s32, 16                                  // 
_v_cmpx_eq_u32 s[32:33], v132, s32                 // is thread in edge glvw region
v_and_b32 v128, 63, v[vgprSerial]                  // permute register between threads
v_lshlrev_b32 v128, 2, v128                        // permute register between threads
v_mov_b32 v133, v98                                // glvw 3 mb 4 tt1 0 r 0
v_mov_b32 v134, v67                                // glvw 3 mb 4 tt1 0 r 0
	;; [unrolled: 1-line block ×3, first 2 shown]
v_mov_b32 v64, v133                                // 
v_mov_b32 v96, v134                                // 
v_mov_b32 v65, v135                                // 
v_mov_b32 v133, v114                               // glvw 3 mb 4 tt1 1 r 0
v_mov_b32 v134, v83                                // glvw 3 mb 4 tt1 1 r 0
v_mov_b32 v135, v115                               // glvw 3 mb 4 tt1 1 r 0
v_mov_b32 v80, v133                                // 
v_mov_b32 v112, v134                               // 
v_mov_b32 v81, v135                                // 
s_mov_b64 s[32:33], 0xFFFFFFFFFFFFFFFF             // to restore all threads active
s_or_saveexec_b64 vcc, s[32:33]                    // all threads active
s_branch label_0172                                // done shifting


/******************************************/
/* shift d1 r=3 mb=5 vw0                  */
/******************************************/
label_0099: // r3 mb5 vw0 
s_mov_b32 s32, 18                                  // 
_v_cmpx_eq_u32 s[32:33], v132, s32                 // is thread in edge glvw region
v_and_b32 v128, 63, v[vgprSerial]                  // permute register between threads
v_lshlrev_b32 v128, 2, v128                        // permute register between threads
v_mov_b32 v133, v102                               // glvw 3 mb 5 tt1 0 r 0
v_mov_b32 v134, v71                                // glvw 3 mb 5 tt1 0 r 0
v_mov_b32 v135, v103                               // glvw 3 mb 5 tt1 0 r 0
v_mov_b32 v68, v133                                // 
v_mov_b32 v100, v134                               // 
v_mov_b32 v69, v135                                // 
v_mov_b32 v133, v118                               // glvw 3 mb 5 tt1 1 r 0
v_mov_b32 v134, v87                                // glvw 3 mb 5 tt1 1 r 0
v_mov_b32 v135, v119                               // glvw 3 mb 5 tt1 1 r 0
v_mov_b32 v84, v133                                // 
v_mov_b32 v116, v134                               // 
v_mov_b32 v85, v135                                // 
s_mov_b64 s[32:33], 0xFFFFFFFFFFFFFFFF             // to restore all threads active
s_or_saveexec_b64 vcc, s[32:33]                    // all threads active
s_branch label_0172                                // done shifting


/******************************************/
/* shift d1 r=3 mb=6 vw0                  */
/******************************************/
label_0101: // r3 mb6 vw0 
s_mov_b32 s32, 20                                  // 
_v_cmpx_eq_u32 s[32:33], v132, s32                 // is thread in edge glvw region
v_and_b32 v128, 63, v[vgprSerial]                  // permute register between threads
v_lshlrev_b32 v128, 2, v128                        // permute register between threads
v_mov_b32 v133, v106                               // glvw 3 mb 6 tt1 0 r 0
v_mov_b32 v134, v75                                // glvw 3 mb 6 tt1 0 r 0
v_mov_b32 v135, v107                               // glvw 3 mb 6 tt1 0 r 0
v_mov_b32 v72, v133                                // 
v_mov_b32 v104, v134                               // 
v_mov_b32 v73, v135                                // 
v_mov_b32 v133, v122                               // glvw 3 mb 6 tt1 1 r 0
v_mov_b32 v134, v91                                // glvw 3 mb 6 tt1 1 r 0
v_mov_b32 v135, v123                               // glvw 3 mb 6 tt1 1 r 0
v_mov_b32 v88, v133                                // 
v_mov_b32 v120, v134                               // 
v_mov_b32 v89, v135                                // 
s_mov_b64 s[32:33], 0xFFFFFFFFFFFFFFFF             // to restore all threads active
s_or_saveexec_b64 vcc, s[32:33]                    // all threads active
s_branch label_0172                                // done shifting


/******************************************/
/* shift d1 r=3 mb=7 vw0                  */
/******************************************/
label_0103: // r3 mb7 vw0 
s_mov_b32 s32, 22                                  // 
_v_cmpx_eq_u32 s[32:33], v132, s32                 // is thread in edge glvw region
v_and_b32 v128, 63, v[vgprSerial]                  // permute register between threads
v_lshlrev_b32 v128, 2, v128                        // permute register between threads
v_mov_b32 v133, v110                               // glvw 3 mb 7 tt1 0 r 0
v_mov_b32 v134, v79                                // glvw 3 mb 7 tt1 0 r 0
v_mov_b32 v135, v111                               // glvw 3 mb 7 tt1 0 r 0
v_mov_b32 v76, v133                                // 
v_mov_b32 v108, v134                               // 
v_mov_b32 v77, v135                                // 
v_mov_b32 v133, v126                               // glvw 3 mb 7 tt1 1 r 0
v_mov_b32 v134, v95                                // glvw 3 mb 7 tt1 1 r 0
v_mov_b32 v135, v127                               // glvw 3 mb 7 tt1 1 r 0
v_mov_b32 v92, v133                                // 
v_mov_b32 v124, v134                               // 
v_mov_b32 v93, v135                                // 
s_mov_b64 s[32:33], 0xFFFFFFFFFFFFFFFF             // to restore all threads active
s_or_saveexec_b64 vcc, s[32:33]                    // all threads active
s_branch label_0172                                // done shifting


/******************************************/
/* shift d1 r=4 mb=0 vw0                  */
/******************************************/
label_0106: // r4 mb0 vw0 
s_mov_b32 s32, 0                                   // 
_v_cmpx_eq_u32 s[32:33], v132, s32                 // is thread in edge glvw region
v_and_b32 v128, 63, v[vgprSerial]                  // permute register between threads
v_lshlrev_b32 v128, 2, v128                        // permute register between threads
v_mov_b32 v133, v2                                 // glvw 4 mb 0 tt1 0 r 0
v_mov_b32 v134, v34                                // glvw 4 mb 0 tt1 0 r 0
v_mov_b32 v135, v3                                 // glvw 4 mb 0 tt1 0 r 0
v_mov_b32 v136, v35                                // glvw 4 mb 0 tt1 0 r 0
v_mov_b32 v0, v133                                 // 
v_mov_b32 v32, v134                                // 
v_mov_b32 v1, v135                                 // 
v_mov_b32 v33, v136                                // 
v_mov_b32 v133, v18                                // glvw 4 mb 0 tt1 1 r 0
v_mov_b32 v134, v50                                // glvw 4 mb 0 tt1 1 r 0
	;; [unrolled: 1-line block ×4, first 2 shown]
v_mov_b32 v16, v133                                // 
v_mov_b32 v48, v134                                // 
	;; [unrolled: 1-line block ×4, first 2 shown]
s_mov_b64 s[32:33], 0xFFFFFFFFFFFFFFFF             // to restore all threads active
s_or_saveexec_b64 vcc, s[32:33]                    // all threads active
s_branch label_0172                                // done shifting


/******************************************/
/* shift d1 r=4 mb=1 vw0                  */
/******************************************/
label_0108: // r4 mb1 vw0 
s_mov_b32 s32, 2                                   // 
_v_cmpx_eq_u32 s[32:33], v132, s32                 // is thread in edge glvw region
v_and_b32 v128, 63, v[vgprSerial]                  // permute register between threads
v_lshlrev_b32 v128, 2, v128                        // permute register between threads
v_mov_b32 v133, v6                                 // glvw 4 mb 1 tt1 0 r 0
v_mov_b32 v134, v38                                // glvw 4 mb 1 tt1 0 r 0
v_mov_b32 v135, v7                                 // glvw 4 mb 1 tt1 0 r 0
v_mov_b32 v136, v39                                // glvw 4 mb 1 tt1 0 r 0
v_mov_b32 v4, v133                                 // 
v_mov_b32 v36, v134                                // 
v_mov_b32 v5, v135                                 // 
v_mov_b32 v37, v136                                // 
v_mov_b32 v133, v22                                // glvw 4 mb 1 tt1 1 r 0
v_mov_b32 v134, v54                                // glvw 4 mb 1 tt1 1 r 0
	;; [unrolled: 1-line block ×4, first 2 shown]
v_mov_b32 v20, v133                                // 
v_mov_b32 v52, v134                                // 
	;; [unrolled: 1-line block ×4, first 2 shown]
s_mov_b64 s[32:33], 0xFFFFFFFFFFFFFFFF             // to restore all threads active
s_or_saveexec_b64 vcc, s[32:33]                    // all threads active
s_branch label_0172                                // done shifting


/******************************************/
/* shift d1 r=4 mb=2 vw0                  */
/******************************************/
label_0110: // r4 mb2 vw0 
s_mov_b32 s32, 4                                   // 
_v_cmpx_eq_u32 s[32:33], v132, s32                 // is thread in edge glvw region
v_and_b32 v128, 63, v[vgprSerial]                  // permute register between threads
v_lshlrev_b32 v128, 2, v128                        // permute register between threads
v_mov_b32 v133, v10                                // glvw 4 mb 2 tt1 0 r 0
v_mov_b32 v134, v42                                // glvw 4 mb 2 tt1 0 r 0
	;; [unrolled: 1-line block ×4, first 2 shown]
v_mov_b32 v8, v133                                 // 
v_mov_b32 v40, v134                                // 
v_mov_b32 v9, v135                                 // 
v_mov_b32 v41, v136                                // 
v_mov_b32 v133, v26                                // glvw 4 mb 2 tt1 1 r 0
v_mov_b32 v134, v58                                // glvw 4 mb 2 tt1 1 r 0
	;; [unrolled: 1-line block ×4, first 2 shown]
v_mov_b32 v24, v133                                // 
v_mov_b32 v56, v134                                // 
	;; [unrolled: 1-line block ×4, first 2 shown]
s_mov_b64 s[32:33], 0xFFFFFFFFFFFFFFFF             // to restore all threads active
s_or_saveexec_b64 vcc, s[32:33]                    // all threads active
s_branch label_0172                                // done shifting


/******************************************/
/* shift d1 r=4 mb=3 vw0                  */
/******************************************/
label_0112: // r4 mb3 vw0 
s_mov_b32 s32, 6                                   // 
_v_cmpx_eq_u32 s[32:33], v132, s32                 // is thread in edge glvw region
v_and_b32 v128, 63, v[vgprSerial]                  // permute register between threads
v_lshlrev_b32 v128, 2, v128                        // permute register between threads
v_mov_b32 v133, v14                                // glvw 4 mb 3 tt1 0 r 0
v_mov_b32 v134, v46                                // glvw 4 mb 3 tt1 0 r 0
	;; [unrolled: 1-line block ×4, first 2 shown]
v_mov_b32 v12, v133                                // 
v_mov_b32 v44, v134                                // 
	;; [unrolled: 1-line block ×4, first 2 shown]
v_mov_b32 v133, v30                                // glvw 4 mb 3 tt1 1 r 0
v_mov_b32 v134, v62                                // glvw 4 mb 3 tt1 1 r 0
	;; [unrolled: 1-line block ×4, first 2 shown]
v_mov_b32 v28, v133                                // 
v_mov_b32 v60, v134                                // 
	;; [unrolled: 1-line block ×4, first 2 shown]
s_mov_b64 s[32:33], 0xFFFFFFFFFFFFFFFF             // to restore all threads active
s_or_saveexec_b64 vcc, s[32:33]                    // all threads active
s_branch label_0172                                // done shifting


/******************************************/
/* shift d1 r=4 mb=4 vw0                  */
/******************************************/
label_0114: // r4 mb4 vw0 
s_mov_b32 s32, 16                                  // 
_v_cmpx_eq_u32 s[32:33], v132, s32                 // is thread in edge glvw region
v_and_b32 v128, 63, v[vgprSerial]                  // permute register between threads
v_lshlrev_b32 v128, 2, v128                        // permute register between threads
v_mov_b32 v133, v66                                // glvw 4 mb 4 tt1 0 r 0
v_mov_b32 v134, v98                                // glvw 4 mb 4 tt1 0 r 0
	;; [unrolled: 1-line block ×4, first 2 shown]
v_mov_b32 v64, v133                                // 
v_mov_b32 v96, v134                                // 
	;; [unrolled: 1-line block ×4, first 2 shown]
v_mov_b32 v133, v82                                // glvw 4 mb 4 tt1 1 r 0
v_mov_b32 v134, v114                               // glvw 4 mb 4 tt1 1 r 0
v_mov_b32 v135, v83                                // glvw 4 mb 4 tt1 1 r 0
v_mov_b32 v136, v115                               // glvw 4 mb 4 tt1 1 r 0
v_mov_b32 v80, v133                                // 
v_mov_b32 v112, v134                               // 
v_mov_b32 v81, v135                                // 
v_mov_b32 v113, v136                               // 
s_mov_b64 s[32:33], 0xFFFFFFFFFFFFFFFF             // to restore all threads active
s_or_saveexec_b64 vcc, s[32:33]                    // all threads active
s_branch label_0172                                // done shifting


/******************************************/
/* shift d1 r=4 mb=5 vw0                  */
/******************************************/
label_0116: // r4 mb5 vw0 
s_mov_b32 s32, 18                                  // 
_v_cmpx_eq_u32 s[32:33], v132, s32                 // is thread in edge glvw region
v_and_b32 v128, 63, v[vgprSerial]                  // permute register between threads
v_lshlrev_b32 v128, 2, v128                        // permute register between threads
v_mov_b32 v133, v70                                // glvw 4 mb 5 tt1 0 r 0
v_mov_b32 v134, v102                               // glvw 4 mb 5 tt1 0 r 0
v_mov_b32 v135, v71                                // glvw 4 mb 5 tt1 0 r 0
v_mov_b32 v136, v103                               // glvw 4 mb 5 tt1 0 r 0
v_mov_b32 v68, v133                                // 
v_mov_b32 v100, v134                               // 
v_mov_b32 v69, v135                                // 
v_mov_b32 v101, v136                               // 
v_mov_b32 v133, v86                                // glvw 4 mb 5 tt1 1 r 0
v_mov_b32 v134, v118                               // glvw 4 mb 5 tt1 1 r 0
v_mov_b32 v135, v87                                // glvw 4 mb 5 tt1 1 r 0
v_mov_b32 v136, v119                               // glvw 4 mb 5 tt1 1 r 0
v_mov_b32 v84, v133                                // 
v_mov_b32 v116, v134                               // 
v_mov_b32 v85, v135                                // 
v_mov_b32 v117, v136                               // 
s_mov_b64 s[32:33], 0xFFFFFFFFFFFFFFFF             // to restore all threads active
s_or_saveexec_b64 vcc, s[32:33]                    // all threads active
s_branch label_0172                                // done shifting


/******************************************/
/* shift d1 r=4 mb=6 vw0                  */
/******************************************/
label_0118: // r4 mb6 vw0 
s_mov_b32 s32, 20                                  // 
_v_cmpx_eq_u32 s[32:33], v132, s32                 // is thread in edge glvw region
v_and_b32 v128, 63, v[vgprSerial]                  // permute register between threads
v_lshlrev_b32 v128, 2, v128                        // permute register between threads
v_mov_b32 v133, v74                                // glvw 4 mb 6 tt1 0 r 0
v_mov_b32 v134, v106                               // glvw 4 mb 6 tt1 0 r 0
v_mov_b32 v135, v75                                // glvw 4 mb 6 tt1 0 r 0
v_mov_b32 v136, v107                               // glvw 4 mb 6 tt1 0 r 0
v_mov_b32 v72, v133                                // 
v_mov_b32 v104, v134                               // 
v_mov_b32 v73, v135                                // 
v_mov_b32 v105, v136                               // 
v_mov_b32 v133, v90                                // glvw 4 mb 6 tt1 1 r 0
v_mov_b32 v134, v122                               // glvw 4 mb 6 tt1 1 r 0
v_mov_b32 v135, v91                                // glvw 4 mb 6 tt1 1 r 0
v_mov_b32 v136, v123                               // glvw 4 mb 6 tt1 1 r 0
v_mov_b32 v88, v133                                // 
v_mov_b32 v120, v134                               // 
v_mov_b32 v89, v135                                // 
v_mov_b32 v121, v136                               // 
s_mov_b64 s[32:33], 0xFFFFFFFFFFFFFFFF             // to restore all threads active
s_or_saveexec_b64 vcc, s[32:33]                    // all threads active
s_branch label_0172                                // done shifting


/******************************************/
/* shift d1 r=4 mb=7 vw0                  */
/******************************************/
label_0120: // r4 mb7 vw0 
s_mov_b32 s32, 22                                  // 
_v_cmpx_eq_u32 s[32:33], v132, s32                 // is thread in edge glvw region
v_and_b32 v128, 63, v[vgprSerial]                  // permute register between threads
v_lshlrev_b32 v128, 2, v128                        // permute register between threads
v_mov_b32 v133, v78                                // glvw 4 mb 7 tt1 0 r 0
v_mov_b32 v134, v110                               // glvw 4 mb 7 tt1 0 r 0
v_mov_b32 v135, v79                                // glvw 4 mb 7 tt1 0 r 0
v_mov_b32 v136, v111                               // glvw 4 mb 7 tt1 0 r 0
v_mov_b32 v76, v133                                // 
v_mov_b32 v108, v134                               // 
v_mov_b32 v77, v135                                // 
v_mov_b32 v109, v136                               // 
v_mov_b32 v133, v94                                // glvw 4 mb 7 tt1 1 r 0
v_mov_b32 v134, v126                               // glvw 4 mb 7 tt1 1 r 0
v_mov_b32 v135, v95                                // glvw 4 mb 7 tt1 1 r 0
v_mov_b32 v136, v127                               // glvw 4 mb 7 tt1 1 r 0
v_mov_b32 v92, v133                                // 
v_mov_b32 v124, v134                               // 
v_mov_b32 v93, v135                                // 
v_mov_b32 v125, v136                               // 
s_mov_b64 s[32:33], 0xFFFFFFFFFFFFFFFF             // to restore all threads active
s_or_saveexec_b64 vcc, s[32:33]                    // all threads active
s_branch label_0172                                // done shifting


/******************************************/
/* shift d1 r=5 mb=0 vw0                  */
/******************************************/
label_0123: // r5 mb0 vw0 
s_mov_b32 s32, 0                                   // 
_v_cmpx_eq_u32 s[32:33], v132, s32                 // is thread in edge glvw region
v_and_b32 v128, 63, v[vgprSerial]                  // permute register between threads
v_lshlrev_b32 v128, 2, v128                        // permute register between threads
v_mov_b32 v133, v33                                // glvw 5 mb 0 tt1 0 r 0
v_mov_b32 v134, v2                                 // glvw 5 mb 0 tt1 0 r 0
v_mov_b32 v135, v34                                // glvw 5 mb 0 tt1 0 r 0
v_mov_b32 v136, v3                                 // glvw 5 mb 0 tt1 0 r 0
v_mov_b32 v137, v35                                // glvw 5 mb 0 tt1 0 r 0
v_mov_b32 v0, v133                                 // 
v_mov_b32 v32, v134                                // 
v_mov_b32 v1, v135                                 // 
v_mov_b32 v33, v136                                // 
v_mov_b32 v2, v137                                 // 
v_mov_b32 v133, v49                                // glvw 5 mb 0 tt1 1 r 0
v_mov_b32 v134, v18                                // glvw 5 mb 0 tt1 1 r 0
	;; [unrolled: 1-line block ×5, first 2 shown]
v_mov_b32 v16, v133                                // 
v_mov_b32 v48, v134                                // 
	;; [unrolled: 1-line block ×5, first 2 shown]
s_mov_b64 s[32:33], 0xFFFFFFFFFFFFFFFF             // to restore all threads active
s_or_saveexec_b64 vcc, s[32:33]                    // all threads active
s_branch label_0172                                // done shifting


/******************************************/
/* shift d1 r=5 mb=1 vw0                  */
/******************************************/
label_0125: // r5 mb1 vw0 
s_mov_b32 s32, 2                                   // 
_v_cmpx_eq_u32 s[32:33], v132, s32                 // is thread in edge glvw region
v_and_b32 v128, 63, v[vgprSerial]                  // permute register between threads
v_lshlrev_b32 v128, 2, v128                        // permute register between threads
v_mov_b32 v133, v37                                // glvw 5 mb 1 tt1 0 r 0
v_mov_b32 v134, v6                                 // glvw 5 mb 1 tt1 0 r 0
v_mov_b32 v135, v38                                // glvw 5 mb 1 tt1 0 r 0
v_mov_b32 v136, v7                                 // glvw 5 mb 1 tt1 0 r 0
v_mov_b32 v137, v39                                // glvw 5 mb 1 tt1 0 r 0
v_mov_b32 v4, v133                                 // 
v_mov_b32 v36, v134                                // 
v_mov_b32 v5, v135                                 // 
v_mov_b32 v37, v136                                // 
v_mov_b32 v6, v137                                 // 
v_mov_b32 v133, v53                                // glvw 5 mb 1 tt1 1 r 0
v_mov_b32 v134, v22                                // glvw 5 mb 1 tt1 1 r 0
	;; [unrolled: 1-line block ×5, first 2 shown]
v_mov_b32 v20, v133                                // 
v_mov_b32 v52, v134                                // 
	;; [unrolled: 1-line block ×5, first 2 shown]
s_mov_b64 s[32:33], 0xFFFFFFFFFFFFFFFF             // to restore all threads active
s_or_saveexec_b64 vcc, s[32:33]                    // all threads active
s_branch label_0172                                // done shifting


/******************************************/
/* shift d1 r=5 mb=2 vw0                  */
/******************************************/
label_0127: // r5 mb2 vw0 
s_mov_b32 s32, 4                                   // 
_v_cmpx_eq_u32 s[32:33], v132, s32                 // is thread in edge glvw region
v_and_b32 v128, 63, v[vgprSerial]                  // permute register between threads
v_lshlrev_b32 v128, 2, v128                        // permute register between threads
v_mov_b32 v133, v41                                // glvw 5 mb 2 tt1 0 r 0
v_mov_b32 v134, v10                                // glvw 5 mb 2 tt1 0 r 0
	;; [unrolled: 1-line block ×5, first 2 shown]
v_mov_b32 v8, v133                                 // 
v_mov_b32 v40, v134                                // 
v_mov_b32 v9, v135                                 // 
v_mov_b32 v41, v136                                // 
v_mov_b32 v10, v137                                // 
v_mov_b32 v133, v57                                // glvw 5 mb 2 tt1 1 r 0
v_mov_b32 v134, v26                                // glvw 5 mb 2 tt1 1 r 0
	;; [unrolled: 1-line block ×5, first 2 shown]
v_mov_b32 v24, v133                                // 
v_mov_b32 v56, v134                                // 
	;; [unrolled: 1-line block ×5, first 2 shown]
s_mov_b64 s[32:33], 0xFFFFFFFFFFFFFFFF             // to restore all threads active
s_or_saveexec_b64 vcc, s[32:33]                    // all threads active
s_branch label_0172                                // done shifting


/******************************************/
/* shift d1 r=5 mb=3 vw0                  */
/******************************************/
label_0129: // r5 mb3 vw0 
s_mov_b32 s32, 6                                   // 
_v_cmpx_eq_u32 s[32:33], v132, s32                 // is thread in edge glvw region
v_and_b32 v128, 63, v[vgprSerial]                  // permute register between threads
v_lshlrev_b32 v128, 2, v128                        // permute register between threads
v_mov_b32 v133, v45                                // glvw 5 mb 3 tt1 0 r 0
v_mov_b32 v134, v14                                // glvw 5 mb 3 tt1 0 r 0
	;; [unrolled: 1-line block ×5, first 2 shown]
v_mov_b32 v12, v133                                // 
v_mov_b32 v44, v134                                // 
	;; [unrolled: 1-line block ×5, first 2 shown]
v_mov_b32 v133, v61                                // glvw 5 mb 3 tt1 1 r 0
v_mov_b32 v134, v30                                // glvw 5 mb 3 tt1 1 r 0
	;; [unrolled: 1-line block ×5, first 2 shown]
v_mov_b32 v28, v133                                // 
v_mov_b32 v60, v134                                // 
	;; [unrolled: 1-line block ×5, first 2 shown]
s_mov_b64 s[32:33], 0xFFFFFFFFFFFFFFFF             // to restore all threads active
s_or_saveexec_b64 vcc, s[32:33]                    // all threads active
s_branch label_0172                                // done shifting


/******************************************/
/* shift d1 r=5 mb=4 vw0                  */
/******************************************/
label_0131: // r5 mb4 vw0 
s_mov_b32 s32, 16                                  // 
_v_cmpx_eq_u32 s[32:33], v132, s32                 // is thread in edge glvw region
v_and_b32 v128, 63, v[vgprSerial]                  // permute register between threads
v_lshlrev_b32 v128, 2, v128                        // permute register between threads
v_mov_b32 v133, v97                                // glvw 5 mb 4 tt1 0 r 0
v_mov_b32 v134, v66                                // glvw 5 mb 4 tt1 0 r 0
	;; [unrolled: 1-line block ×5, first 2 shown]
v_mov_b32 v64, v133                                // 
v_mov_b32 v96, v134                                // 
	;; [unrolled: 1-line block ×5, first 2 shown]
v_mov_b32 v133, v113                               // glvw 5 mb 4 tt1 1 r 0
v_mov_b32 v134, v82                                // glvw 5 mb 4 tt1 1 r 0
v_mov_b32 v135, v114                               // glvw 5 mb 4 tt1 1 r 0
v_mov_b32 v136, v83                                // glvw 5 mb 4 tt1 1 r 0
v_mov_b32 v137, v115                               // glvw 5 mb 4 tt1 1 r 0
v_mov_b32 v80, v133                                // 
v_mov_b32 v112, v134                               // 
v_mov_b32 v81, v135                                // 
v_mov_b32 v113, v136                               // 
v_mov_b32 v82, v137                                // 
s_mov_b64 s[32:33], 0xFFFFFFFFFFFFFFFF             // to restore all threads active
s_or_saveexec_b64 vcc, s[32:33]                    // all threads active
s_branch label_0172                                // done shifting


/******************************************/
/* shift d1 r=5 mb=5 vw0                  */
/******************************************/
label_0133: // r5 mb5 vw0 
s_mov_b32 s32, 18                                  // 
_v_cmpx_eq_u32 s[32:33], v132, s32                 // is thread in edge glvw region
v_and_b32 v128, 63, v[vgprSerial]                  // permute register between threads
v_lshlrev_b32 v128, 2, v128                        // permute register between threads
v_mov_b32 v133, v101                               // glvw 5 mb 5 tt1 0 r 0
v_mov_b32 v134, v70                                // glvw 5 mb 5 tt1 0 r 0
v_mov_b32 v135, v102                               // glvw 5 mb 5 tt1 0 r 0
v_mov_b32 v136, v71                                // glvw 5 mb 5 tt1 0 r 0
v_mov_b32 v137, v103                               // glvw 5 mb 5 tt1 0 r 0
v_mov_b32 v68, v133                                // 
v_mov_b32 v100, v134                               // 
v_mov_b32 v69, v135                                // 
v_mov_b32 v101, v136                               // 
v_mov_b32 v70, v137                                // 
v_mov_b32 v133, v117                               // glvw 5 mb 5 tt1 1 r 0
v_mov_b32 v134, v86                                // glvw 5 mb 5 tt1 1 r 0
v_mov_b32 v135, v118                               // glvw 5 mb 5 tt1 1 r 0
v_mov_b32 v136, v87                                // glvw 5 mb 5 tt1 1 r 0
v_mov_b32 v137, v119                               // glvw 5 mb 5 tt1 1 r 0
v_mov_b32 v84, v133                                // 
v_mov_b32 v116, v134                               // 
v_mov_b32 v85, v135                                // 
v_mov_b32 v117, v136                               // 
v_mov_b32 v86, v137                                // 
s_mov_b64 s[32:33], 0xFFFFFFFFFFFFFFFF             // to restore all threads active
s_or_saveexec_b64 vcc, s[32:33]                    // all threads active
s_branch label_0172                                // done shifting


/******************************************/
/* shift d1 r=5 mb=6 vw0                  */
/******************************************/
label_0135: // r5 mb6 vw0 
s_mov_b32 s32, 20                                  // 
_v_cmpx_eq_u32 s[32:33], v132, s32                 // is thread in edge glvw region
v_and_b32 v128, 63, v[vgprSerial]                  // permute register between threads
v_lshlrev_b32 v128, 2, v128                        // permute register between threads
v_mov_b32 v133, v105                               // glvw 5 mb 6 tt1 0 r 0
v_mov_b32 v134, v74                                // glvw 5 mb 6 tt1 0 r 0
v_mov_b32 v135, v106                               // glvw 5 mb 6 tt1 0 r 0
v_mov_b32 v136, v75                                // glvw 5 mb 6 tt1 0 r 0
v_mov_b32 v137, v107                               // glvw 5 mb 6 tt1 0 r 0
v_mov_b32 v72, v133                                // 
v_mov_b32 v104, v134                               // 
v_mov_b32 v73, v135                                // 
v_mov_b32 v105, v136                               // 
v_mov_b32 v74, v137                                // 
v_mov_b32 v133, v121                               // glvw 5 mb 6 tt1 1 r 0
v_mov_b32 v134, v90                                // glvw 5 mb 6 tt1 1 r 0
v_mov_b32 v135, v122                               // glvw 5 mb 6 tt1 1 r 0
v_mov_b32 v136, v91                                // glvw 5 mb 6 tt1 1 r 0
v_mov_b32 v137, v123                               // glvw 5 mb 6 tt1 1 r 0
v_mov_b32 v88, v133                                // 
v_mov_b32 v120, v134                               // 
v_mov_b32 v89, v135                                // 
v_mov_b32 v121, v136                               // 
v_mov_b32 v90, v137                                // 
s_mov_b64 s[32:33], 0xFFFFFFFFFFFFFFFF             // to restore all threads active
s_or_saveexec_b64 vcc, s[32:33]                    // all threads active
s_branch label_0172                                // done shifting


/******************************************/
/* shift d1 r=5 mb=7 vw0                  */
/******************************************/
label_0137: // r5 mb7 vw0 
s_mov_b32 s32, 22                                  // 
_v_cmpx_eq_u32 s[32:33], v132, s32                 // is thread in edge glvw region
v_and_b32 v128, 63, v[vgprSerial]                  // permute register between threads
v_lshlrev_b32 v128, 2, v128                        // permute register between threads
v_mov_b32 v133, v109                               // glvw 5 mb 7 tt1 0 r 0
v_mov_b32 v134, v78                                // glvw 5 mb 7 tt1 0 r 0
v_mov_b32 v135, v110                               // glvw 5 mb 7 tt1 0 r 0
v_mov_b32 v136, v79                                // glvw 5 mb 7 tt1 0 r 0
v_mov_b32 v137, v111                               // glvw 5 mb 7 tt1 0 r 0
v_mov_b32 v76, v133                                // 
v_mov_b32 v108, v134                               // 
v_mov_b32 v77, v135                                // 
v_mov_b32 v109, v136                               // 
v_mov_b32 v78, v137                                // 
v_mov_b32 v133, v125                               // glvw 5 mb 7 tt1 1 r 0
v_mov_b32 v134, v94                                // glvw 5 mb 7 tt1 1 r 0
v_mov_b32 v135, v126                               // glvw 5 mb 7 tt1 1 r 0
v_mov_b32 v136, v95                                // glvw 5 mb 7 tt1 1 r 0
v_mov_b32 v137, v127                               // glvw 5 mb 7 tt1 1 r 0
v_mov_b32 v92, v133                                // 
v_mov_b32 v124, v134                               // 
v_mov_b32 v93, v135                                // 
v_mov_b32 v125, v136                               // 
v_mov_b32 v94, v137                                // 
s_mov_b64 s[32:33], 0xFFFFFFFFFFFFFFFF             // to restore all threads active
s_or_saveexec_b64 vcc, s[32:33]                    // all threads active
s_branch label_0172                                // done shifting


/******************************************/
/* shift d1 r=6 mb=0 vw0                  */
/******************************************/
label_0140: // r6 mb0 vw0 
s_mov_b32 s32, 0                                   // 
_v_cmpx_eq_u32 s[32:33], v132, s32                 // is thread in edge glvw region
v_and_b32 v128, 63, v[vgprSerial]                  // permute register between threads
v_lshlrev_b32 v128, 2, v128                        // permute register between threads
v_mov_b32 v133, v1                                 // glvw 6 mb 0 tt1 0 r 0
v_mov_b32 v134, v33                                // glvw 6 mb 0 tt1 0 r 0
v_mov_b32 v135, v2                                 // glvw 6 mb 0 tt1 0 r 0
v_mov_b32 v136, v34                                // glvw 6 mb 0 tt1 0 r 0
	;; [unrolled: 2-line block ×3, first 2 shown]
v_mov_b32 v0, v133                                 // 
v_mov_b32 v32, v134                                // 
v_mov_b32 v1, v135                                 // 
v_mov_b32 v33, v136                                // 
	;; [unrolled: 2-line block ×3, first 2 shown]
v_mov_b32 v133, v17                                // glvw 6 mb 0 tt1 1 r 0
v_mov_b32 v134, v49                                // glvw 6 mb 0 tt1 1 r 0
	;; [unrolled: 1-line block ×6, first 2 shown]
v_mov_b32 v16, v133                                // 
v_mov_b32 v48, v134                                // 
	;; [unrolled: 1-line block ×6, first 2 shown]
s_mov_b64 s[32:33], 0xFFFFFFFFFFFFFFFF             // to restore all threads active
s_or_saveexec_b64 vcc, s[32:33]                    // all threads active
s_branch label_0172                                // done shifting


/******************************************/
/* shift d1 r=6 mb=1 vw0                  */
/******************************************/
label_0142: // r6 mb1 vw0 
s_mov_b32 s32, 2                                   // 
_v_cmpx_eq_u32 s[32:33], v132, s32                 // is thread in edge glvw region
v_and_b32 v128, 63, v[vgprSerial]                  // permute register between threads
v_lshlrev_b32 v128, 2, v128                        // permute register between threads
v_mov_b32 v133, v5                                 // glvw 6 mb 1 tt1 0 r 0
v_mov_b32 v134, v37                                // glvw 6 mb 1 tt1 0 r 0
v_mov_b32 v135, v6                                 // glvw 6 mb 1 tt1 0 r 0
v_mov_b32 v136, v38                                // glvw 6 mb 1 tt1 0 r 0
	;; [unrolled: 2-line block ×3, first 2 shown]
v_mov_b32 v4, v133                                 // 
v_mov_b32 v36, v134                                // 
v_mov_b32 v5, v135                                 // 
v_mov_b32 v37, v136                                // 
v_mov_b32 v6, v137                                 // 
v_mov_b32 v38, v138                                // 
v_mov_b32 v133, v21                                // glvw 6 mb 1 tt1 1 r 0
v_mov_b32 v134, v53                                // glvw 6 mb 1 tt1 1 r 0
	;; [unrolled: 1-line block ×6, first 2 shown]
v_mov_b32 v20, v133                                // 
v_mov_b32 v52, v134                                // 
	;; [unrolled: 1-line block ×6, first 2 shown]
s_mov_b64 s[32:33], 0xFFFFFFFFFFFFFFFF             // to restore all threads active
s_or_saveexec_b64 vcc, s[32:33]                    // all threads active
s_branch label_0172                                // done shifting


/******************************************/
/* shift d1 r=6 mb=2 vw0                  */
/******************************************/
label_0144: // r6 mb2 vw0 
s_mov_b32 s32, 4                                   // 
_v_cmpx_eq_u32 s[32:33], v132, s32                 // is thread in edge glvw region
v_and_b32 v128, 63, v[vgprSerial]                  // permute register between threads
v_lshlrev_b32 v128, 2, v128                        // permute register between threads
v_mov_b32 v133, v9                                 // glvw 6 mb 2 tt1 0 r 0
v_mov_b32 v134, v41                                // glvw 6 mb 2 tt1 0 r 0
v_mov_b32 v135, v10                                // glvw 6 mb 2 tt1 0 r 0
	;; [unrolled: 1-line block ×5, first 2 shown]
v_mov_b32 v8, v133                                 // 
v_mov_b32 v40, v134                                // 
v_mov_b32 v9, v135                                 // 
v_mov_b32 v41, v136                                // 
v_mov_b32 v10, v137                                // 
	;; [unrolled: 1-line block ×3, first 2 shown]
v_mov_b32 v133, v25                                // glvw 6 mb 2 tt1 1 r 0
v_mov_b32 v134, v57                                // glvw 6 mb 2 tt1 1 r 0
	;; [unrolled: 1-line block ×6, first 2 shown]
v_mov_b32 v24, v133                                // 
v_mov_b32 v56, v134                                // 
v_mov_b32 v25, v135                                // 
v_mov_b32 v57, v136                                // 
v_mov_b32 v26, v137                                // 
v_mov_b32 v58, v138                                // 
s_mov_b64 s[32:33], 0xFFFFFFFFFFFFFFFF             // to restore all threads active
s_or_saveexec_b64 vcc, s[32:33]                    // all threads active
s_branch label_0172                                // done shifting


/******************************************/
/* shift d1 r=6 mb=3 vw0                  */
/******************************************/
label_0146: // r6 mb3 vw0 
s_mov_b32 s32, 6                                   // 
_v_cmpx_eq_u32 s[32:33], v132, s32                 // is thread in edge glvw region
v_and_b32 v128, 63, v[vgprSerial]                  // permute register between threads
v_lshlrev_b32 v128, 2, v128                        // permute register between threads
v_mov_b32 v133, v13                                // glvw 6 mb 3 tt1 0 r 0
v_mov_b32 v134, v45                                // glvw 6 mb 3 tt1 0 r 0
	;; [unrolled: 1-line block ×6, first 2 shown]
v_mov_b32 v12, v133                                // 
v_mov_b32 v44, v134                                // 
	;; [unrolled: 1-line block ×6, first 2 shown]
v_mov_b32 v133, v29                                // glvw 6 mb 3 tt1 1 r 0
v_mov_b32 v134, v61                                // glvw 6 mb 3 tt1 1 r 0
	;; [unrolled: 1-line block ×6, first 2 shown]
v_mov_b32 v28, v133                                // 
v_mov_b32 v60, v134                                // 
	;; [unrolled: 1-line block ×6, first 2 shown]
s_mov_b64 s[32:33], 0xFFFFFFFFFFFFFFFF             // to restore all threads active
s_or_saveexec_b64 vcc, s[32:33]                    // all threads active
s_branch label_0172                                // done shifting


/******************************************/
/* shift d1 r=6 mb=4 vw0                  */
/******************************************/
label_0148: // r6 mb4 vw0 
s_mov_b32 s32, 16                                  // 
_v_cmpx_eq_u32 s[32:33], v132, s32                 // is thread in edge glvw region
v_and_b32 v128, 63, v[vgprSerial]                  // permute register between threads
v_lshlrev_b32 v128, 2, v128                        // permute register between threads
v_mov_b32 v133, v65                                // glvw 6 mb 4 tt1 0 r 0
v_mov_b32 v134, v97                                // glvw 6 mb 4 tt1 0 r 0
	;; [unrolled: 1-line block ×6, first 2 shown]
v_mov_b32 v64, v133                                // 
v_mov_b32 v96, v134                                // 
	;; [unrolled: 1-line block ×6, first 2 shown]
v_mov_b32 v133, v81                                // glvw 6 mb 4 tt1 1 r 0
v_mov_b32 v134, v113                               // glvw 6 mb 4 tt1 1 r 0
v_mov_b32 v135, v82                                // glvw 6 mb 4 tt1 1 r 0
v_mov_b32 v136, v114                               // glvw 6 mb 4 tt1 1 r 0
	;; [unrolled: 2-line block ×3, first 2 shown]
v_mov_b32 v80, v133                                // 
v_mov_b32 v112, v134                               // 
v_mov_b32 v81, v135                                // 
v_mov_b32 v113, v136                               // 
	;; [unrolled: 2-line block ×3, first 2 shown]
s_mov_b64 s[32:33], 0xFFFFFFFFFFFFFFFF             // to restore all threads active
s_or_saveexec_b64 vcc, s[32:33]                    // all threads active
s_branch label_0172                                // done shifting


/******************************************/
/* shift d1 r=6 mb=5 vw0                  */
/******************************************/
label_0150: // r6 mb5 vw0 
s_mov_b32 s32, 18                                  // 
_v_cmpx_eq_u32 s[32:33], v132, s32                 // is thread in edge glvw region
v_and_b32 v128, 63, v[vgprSerial]                  // permute register between threads
v_lshlrev_b32 v128, 2, v128                        // permute register between threads
v_mov_b32 v133, v69                                // glvw 6 mb 5 tt1 0 r 0
v_mov_b32 v134, v101                               // glvw 6 mb 5 tt1 0 r 0
v_mov_b32 v135, v70                                // glvw 6 mb 5 tt1 0 r 0
v_mov_b32 v136, v102                               // glvw 6 mb 5 tt1 0 r 0
	;; [unrolled: 2-line block ×3, first 2 shown]
v_mov_b32 v68, v133                                // 
v_mov_b32 v100, v134                               // 
v_mov_b32 v69, v135                                // 
v_mov_b32 v101, v136                               // 
	;; [unrolled: 2-line block ×3, first 2 shown]
v_mov_b32 v133, v85                                // glvw 6 mb 5 tt1 1 r 0
v_mov_b32 v134, v117                               // glvw 6 mb 5 tt1 1 r 0
v_mov_b32 v135, v86                                // glvw 6 mb 5 tt1 1 r 0
v_mov_b32 v136, v118                               // glvw 6 mb 5 tt1 1 r 0
v_mov_b32 v137, v87                                // glvw 6 mb 5 tt1 1 r 0
v_mov_b32 v138, v119                               // glvw 6 mb 5 tt1 1 r 0
v_mov_b32 v84, v133                                // 
v_mov_b32 v116, v134                               // 
v_mov_b32 v85, v135                                // 
v_mov_b32 v117, v136                               // 
	;; [unrolled: 2-line block ×3, first 2 shown]
s_mov_b64 s[32:33], 0xFFFFFFFFFFFFFFFF             // to restore all threads active
s_or_saveexec_b64 vcc, s[32:33]                    // all threads active
s_branch label_0172                                // done shifting


/******************************************/
/* shift d1 r=6 mb=6 vw0                  */
/******************************************/
label_0152: // r6 mb6 vw0 
s_mov_b32 s32, 20                                  // 
_v_cmpx_eq_u32 s[32:33], v132, s32                 // is thread in edge glvw region
v_and_b32 v128, 63, v[vgprSerial]                  // permute register between threads
v_lshlrev_b32 v128, 2, v128                        // permute register between threads
v_mov_b32 v133, v73                                // glvw 6 mb 6 tt1 0 r 0
v_mov_b32 v134, v105                               // glvw 6 mb 6 tt1 0 r 0
v_mov_b32 v135, v74                                // glvw 6 mb 6 tt1 0 r 0
v_mov_b32 v136, v106                               // glvw 6 mb 6 tt1 0 r 0
	;; [unrolled: 2-line block ×3, first 2 shown]
v_mov_b32 v72, v133                                // 
v_mov_b32 v104, v134                               // 
v_mov_b32 v73, v135                                // 
v_mov_b32 v105, v136                               // 
	;; [unrolled: 2-line block ×3, first 2 shown]
v_mov_b32 v133, v89                                // glvw 6 mb 6 tt1 1 r 0
v_mov_b32 v134, v121                               // glvw 6 mb 6 tt1 1 r 0
v_mov_b32 v135, v90                                // glvw 6 mb 6 tt1 1 r 0
v_mov_b32 v136, v122                               // glvw 6 mb 6 tt1 1 r 0
	;; [unrolled: 2-line block ×3, first 2 shown]
v_mov_b32 v88, v133                                // 
v_mov_b32 v120, v134                               // 
v_mov_b32 v89, v135                                // 
v_mov_b32 v121, v136                               // 
	;; [unrolled: 2-line block ×3, first 2 shown]
s_mov_b64 s[32:33], 0xFFFFFFFFFFFFFFFF             // to restore all threads active
s_or_saveexec_b64 vcc, s[32:33]                    // all threads active
s_branch label_0172                                // done shifting


/******************************************/
/* shift d1 r=6 mb=7 vw0                  */
/******************************************/
label_0154: // r6 mb7 vw0 
s_mov_b32 s32, 22                                  // 
_v_cmpx_eq_u32 s[32:33], v132, s32                 // is thread in edge glvw region
v_and_b32 v128, 63, v[vgprSerial]                  // permute register between threads
v_lshlrev_b32 v128, 2, v128                        // permute register between threads
v_mov_b32 v133, v77                                // glvw 6 mb 7 tt1 0 r 0
v_mov_b32 v134, v109                               // glvw 6 mb 7 tt1 0 r 0
v_mov_b32 v135, v78                                // glvw 6 mb 7 tt1 0 r 0
v_mov_b32 v136, v110                               // glvw 6 mb 7 tt1 0 r 0
	;; [unrolled: 2-line block ×3, first 2 shown]
v_mov_b32 v76, v133                                // 
v_mov_b32 v108, v134                               // 
v_mov_b32 v77, v135                                // 
v_mov_b32 v109, v136                               // 
	;; [unrolled: 2-line block ×3, first 2 shown]
v_mov_b32 v133, v93                                // glvw 6 mb 7 tt1 1 r 0
v_mov_b32 v134, v125                               // glvw 6 mb 7 tt1 1 r 0
v_mov_b32 v135, v94                                // glvw 6 mb 7 tt1 1 r 0
v_mov_b32 v136, v126                               // glvw 6 mb 7 tt1 1 r 0
	;; [unrolled: 2-line block ×3, first 2 shown]
v_mov_b32 v92, v133                                // 
v_mov_b32 v124, v134                               // 
v_mov_b32 v93, v135                                // 
v_mov_b32 v125, v136                               // 
	;; [unrolled: 2-line block ×3, first 2 shown]
s_mov_b64 s[32:33], 0xFFFFFFFFFFFFFFFF             // to restore all threads active
s_or_saveexec_b64 vcc, s[32:33]                    // all threads active
s_branch label_0172                                // done shifting


/******************************************/
/* shift d1 r=7 mb=0 vw0                  */
/******************************************/
label_0157: // r7 mb0 vw0 
s_mov_b32 s32, 0                                   // 
_v_cmpx_eq_u32 s[32:33], v132, s32                 // is thread in edge glvw region
v_and_b32 v128, 63, v[vgprSerial]                  // permute register between threads
v_lshlrev_b32 v128, 2, v128                        // permute register between threads
v_mov_b32 v133, v32                                // glvw 7 mb 0 tt1 0 r 0
v_mov_b32 v134, v1                                 // glvw 7 mb 0 tt1 0 r 0
v_mov_b32 v135, v33                                // glvw 7 mb 0 tt1 0 r 0
v_mov_b32 v136, v2                                 // glvw 7 mb 0 tt1 0 r 0
v_mov_b32 v137, v34                                // glvw 7 mb 0 tt1 0 r 0
v_mov_b32 v138, v3                                 // glvw 7 mb 0 tt1 0 r 0
v_mov_b32 v139, v35                                // glvw 7 mb 0 tt1 0 r 0
v_mov_b32 v0, v133                                 // 
v_mov_b32 v32, v134                                // 
v_mov_b32 v1, v135                                 // 
v_mov_b32 v33, v136                                // 
	;; [unrolled: 2-line block ×3, first 2 shown]
v_mov_b32 v3, v139                                 // 
v_mov_b32 v133, v48                                // glvw 7 mb 0 tt1 1 r 0
v_mov_b32 v134, v17                                // glvw 7 mb 0 tt1 1 r 0
	;; [unrolled: 1-line block ×7, first 2 shown]
v_mov_b32 v16, v133                                // 
v_mov_b32 v48, v134                                // 
	;; [unrolled: 1-line block ×7, first 2 shown]
s_mov_b64 s[32:33], 0xFFFFFFFFFFFFFFFF             // to restore all threads active
s_or_saveexec_b64 vcc, s[32:33]                    // all threads active
s_branch label_0172                                // done shifting


/******************************************/
/* shift d1 r=7 mb=1 vw0                  */
/******************************************/
label_0159: // r7 mb1 vw0 
s_mov_b32 s32, 2                                   // 
_v_cmpx_eq_u32 s[32:33], v132, s32                 // is thread in edge glvw region
v_and_b32 v128, 63, v[vgprSerial]                  // permute register between threads
v_lshlrev_b32 v128, 2, v128                        // permute register between threads
v_mov_b32 v133, v36                                // glvw 7 mb 1 tt1 0 r 0
v_mov_b32 v134, v5                                 // glvw 7 mb 1 tt1 0 r 0
v_mov_b32 v135, v37                                // glvw 7 mb 1 tt1 0 r 0
v_mov_b32 v136, v6                                 // glvw 7 mb 1 tt1 0 r 0
	;; [unrolled: 2-line block ×3, first 2 shown]
v_mov_b32 v139, v39                                // glvw 7 mb 1 tt1 0 r 0
v_mov_b32 v4, v133                                 // 
v_mov_b32 v36, v134                                // 
v_mov_b32 v5, v135                                 // 
v_mov_b32 v37, v136                                // 
	;; [unrolled: 2-line block ×3, first 2 shown]
v_mov_b32 v7, v139                                 // 
v_mov_b32 v133, v52                                // glvw 7 mb 1 tt1 1 r 0
v_mov_b32 v134, v21                                // glvw 7 mb 1 tt1 1 r 0
	;; [unrolled: 1-line block ×7, first 2 shown]
v_mov_b32 v20, v133                                // 
v_mov_b32 v52, v134                                // 
	;; [unrolled: 1-line block ×7, first 2 shown]
s_mov_b64 s[32:33], 0xFFFFFFFFFFFFFFFF             // to restore all threads active
s_or_saveexec_b64 vcc, s[32:33]                    // all threads active
s_branch label_0172                                // done shifting


/******************************************/
/* shift d1 r=7 mb=2 vw0                  */
/******************************************/
label_0161: // r7 mb2 vw0 
s_mov_b32 s32, 4                                   // 
_v_cmpx_eq_u32 s[32:33], v132, s32                 // is thread in edge glvw region
v_and_b32 v128, 63, v[vgprSerial]                  // permute register between threads
v_lshlrev_b32 v128, 2, v128                        // permute register between threads
v_mov_b32 v133, v40                                // glvw 7 mb 2 tt1 0 r 0
v_mov_b32 v134, v9                                 // glvw 7 mb 2 tt1 0 r 0
v_mov_b32 v135, v41                                // glvw 7 mb 2 tt1 0 r 0
v_mov_b32 v136, v10                                // glvw 7 mb 2 tt1 0 r 0
v_mov_b32 v137, v42                                // glvw 7 mb 2 tt1 0 r 0
v_mov_b32 v138, v11                                // glvw 7 mb 2 tt1 0 r 0
v_mov_b32 v139, v43                                // glvw 7 mb 2 tt1 0 r 0
v_mov_b32 v8, v133                                 // 
v_mov_b32 v40, v134                                // 
v_mov_b32 v9, v135                                 // 
v_mov_b32 v41, v136                                // 
v_mov_b32 v10, v137                                // 
	;; [unrolled: 1-line block ×4, first 2 shown]
v_mov_b32 v133, v56                                // glvw 7 mb 2 tt1 1 r 0
v_mov_b32 v134, v25                                // glvw 7 mb 2 tt1 1 r 0
	;; [unrolled: 1-line block ×7, first 2 shown]
v_mov_b32 v24, v133                                // 
v_mov_b32 v56, v134                                // 
	;; [unrolled: 1-line block ×7, first 2 shown]
s_mov_b64 s[32:33], 0xFFFFFFFFFFFFFFFF             // to restore all threads active
s_or_saveexec_b64 vcc, s[32:33]                    // all threads active
s_branch label_0172                                // done shifting


/******************************************/
/* shift d1 r=7 mb=3 vw0                  */
/******************************************/
label_0163: // r7 mb3 vw0 
s_mov_b32 s32, 6                                   // 
_v_cmpx_eq_u32 s[32:33], v132, s32                 // is thread in edge glvw region
v_and_b32 v128, 63, v[vgprSerial]                  // permute register between threads
v_lshlrev_b32 v128, 2, v128                        // permute register between threads
v_mov_b32 v133, v44                                // glvw 7 mb 3 tt1 0 r 0
v_mov_b32 v134, v13                                // glvw 7 mb 3 tt1 0 r 0
v_mov_b32 v135, v45                                // glvw 7 mb 3 tt1 0 r 0
v_mov_b32 v136, v14                                // glvw 7 mb 3 tt1 0 r 0
v_mov_b32 v137, v46                                // glvw 7 mb 3 tt1 0 r 0
v_mov_b32 v138, v15                                // glvw 7 mb 3 tt1 0 r 0
v_mov_b32 v139, v47                                // glvw 7 mb 3 tt1 0 r 0
v_mov_b32 v12, v133                                // 
v_mov_b32 v44, v134                                // 
	;; [unrolled: 1-line block ×7, first 2 shown]
v_mov_b32 v133, v60                                // glvw 7 mb 3 tt1 1 r 0
v_mov_b32 v134, v29                                // glvw 7 mb 3 tt1 1 r 0
	;; [unrolled: 1-line block ×7, first 2 shown]
v_mov_b32 v28, v133                                // 
v_mov_b32 v60, v134                                // 
v_mov_b32 v29, v135                                // 
v_mov_b32 v61, v136                                // 
v_mov_b32 v30, v137                                // 
v_mov_b32 v62, v138                                // 
v_mov_b32 v31, v139                                // 
s_mov_b64 s[32:33], 0xFFFFFFFFFFFFFFFF             // to restore all threads active
s_or_saveexec_b64 vcc, s[32:33]                    // all threads active
s_branch label_0172                                // done shifting


/******************************************/
/* shift d1 r=7 mb=4 vw0                  */
/******************************************/
label_0165: // r7 mb4 vw0 
s_mov_b32 s32, 16                                  // 
_v_cmpx_eq_u32 s[32:33], v132, s32                 // is thread in edge glvw region
v_and_b32 v128, 63, v[vgprSerial]                  // permute register between threads
v_lshlrev_b32 v128, 2, v128                        // permute register between threads
v_mov_b32 v133, v96                                // glvw 7 mb 4 tt1 0 r 0
v_mov_b32 v134, v65                                // glvw 7 mb 4 tt1 0 r 0
	;; [unrolled: 1-line block ×7, first 2 shown]
v_mov_b32 v64, v133                                // 
v_mov_b32 v96, v134                                // 
	;; [unrolled: 1-line block ×7, first 2 shown]
v_mov_b32 v133, v112                               // glvw 7 mb 4 tt1 1 r 0
v_mov_b32 v134, v81                                // glvw 7 mb 4 tt1 1 r 0
v_mov_b32 v135, v113                               // glvw 7 mb 4 tt1 1 r 0
v_mov_b32 v136, v82                                // glvw 7 mb 4 tt1 1 r 0
v_mov_b32 v137, v114                               // glvw 7 mb 4 tt1 1 r 0
v_mov_b32 v138, v83                                // glvw 7 mb 4 tt1 1 r 0
v_mov_b32 v139, v115                               // glvw 7 mb 4 tt1 1 r 0
v_mov_b32 v80, v133                                // 
v_mov_b32 v112, v134                               // 
v_mov_b32 v81, v135                                // 
v_mov_b32 v113, v136                               // 
	;; [unrolled: 2-line block ×3, first 2 shown]
v_mov_b32 v83, v139                                // 
s_mov_b64 s[32:33], 0xFFFFFFFFFFFFFFFF             // to restore all threads active
s_or_saveexec_b64 vcc, s[32:33]                    // all threads active
s_branch label_0172                                // done shifting


/******************************************/
/* shift d1 r=7 mb=5 vw0                  */
/******************************************/
label_0167: // r7 mb5 vw0 
s_mov_b32 s32, 18                                  // 
_v_cmpx_eq_u32 s[32:33], v132, s32                 // is thread in edge glvw region
v_and_b32 v128, 63, v[vgprSerial]                  // permute register between threads
v_lshlrev_b32 v128, 2, v128                        // permute register between threads
v_mov_b32 v133, v100                               // glvw 7 mb 5 tt1 0 r 0
v_mov_b32 v134, v69                                // glvw 7 mb 5 tt1 0 r 0
v_mov_b32 v135, v101                               // glvw 7 mb 5 tt1 0 r 0
v_mov_b32 v136, v70                                // glvw 7 mb 5 tt1 0 r 0
	;; [unrolled: 2-line block ×3, first 2 shown]
v_mov_b32 v139, v103                               // glvw 7 mb 5 tt1 0 r 0
v_mov_b32 v68, v133                                // 
v_mov_b32 v100, v134                               // 
v_mov_b32 v69, v135                                // 
v_mov_b32 v101, v136                               // 
	;; [unrolled: 2-line block ×3, first 2 shown]
v_mov_b32 v71, v139                                // 
v_mov_b32 v133, v116                               // glvw 7 mb 5 tt1 1 r 0
v_mov_b32 v134, v85                                // glvw 7 mb 5 tt1 1 r 0
v_mov_b32 v135, v117                               // glvw 7 mb 5 tt1 1 r 0
v_mov_b32 v136, v86                                // glvw 7 mb 5 tt1 1 r 0
	;; [unrolled: 2-line block ×3, first 2 shown]
v_mov_b32 v139, v119                               // glvw 7 mb 5 tt1 1 r 0
v_mov_b32 v84, v133                                // 
v_mov_b32 v116, v134                               // 
v_mov_b32 v85, v135                                // 
v_mov_b32 v117, v136                               // 
	;; [unrolled: 2-line block ×3, first 2 shown]
v_mov_b32 v87, v139                                // 
s_mov_b64 s[32:33], 0xFFFFFFFFFFFFFFFF             // to restore all threads active
s_or_saveexec_b64 vcc, s[32:33]                    // all threads active
s_branch label_0172                                // done shifting


/******************************************/
/* shift d1 r=7 mb=6 vw0                  */
/******************************************/
label_0169: // r7 mb6 vw0 
s_mov_b32 s32, 20                                  // 
_v_cmpx_eq_u32 s[32:33], v132, s32                 // is thread in edge glvw region
v_and_b32 v128, 63, v[vgprSerial]                  // permute register between threads
v_lshlrev_b32 v128, 2, v128                        // permute register between threads
v_mov_b32 v133, v104                               // glvw 7 mb 6 tt1 0 r 0
v_mov_b32 v134, v73                                // glvw 7 mb 6 tt1 0 r 0
v_mov_b32 v135, v105                               // glvw 7 mb 6 tt1 0 r 0
v_mov_b32 v136, v74                                // glvw 7 mb 6 tt1 0 r 0
	;; [unrolled: 2-line block ×3, first 2 shown]
v_mov_b32 v139, v107                               // glvw 7 mb 6 tt1 0 r 0
v_mov_b32 v72, v133                                // 
v_mov_b32 v104, v134                               // 
v_mov_b32 v73, v135                                // 
v_mov_b32 v105, v136                               // 
v_mov_b32 v74, v137                                // 
v_mov_b32 v106, v138                               // 
v_mov_b32 v75, v139                                // 
v_mov_b32 v133, v120                               // glvw 7 mb 6 tt1 1 r 0
v_mov_b32 v134, v89                                // glvw 7 mb 6 tt1 1 r 0
v_mov_b32 v135, v121                               // glvw 7 mb 6 tt1 1 r 0
v_mov_b32 v136, v90                                // glvw 7 mb 6 tt1 1 r 0
	;; [unrolled: 2-line block ×3, first 2 shown]
v_mov_b32 v139, v123                               // glvw 7 mb 6 tt1 1 r 0
v_mov_b32 v88, v133                                // 
v_mov_b32 v120, v134                               // 
v_mov_b32 v89, v135                                // 
v_mov_b32 v121, v136                               // 
	;; [unrolled: 2-line block ×3, first 2 shown]
v_mov_b32 v91, v139                                // 
s_mov_b64 s[32:33], 0xFFFFFFFFFFFFFFFF             // to restore all threads active
s_or_saveexec_b64 vcc, s[32:33]                    // all threads active
s_branch label_0172                                // done shifting


/******************************************/
/* shift d1 r=7 mb=7 vw0                  */
/******************************************/
label_0171: // r7 mb7 vw0 
s_mov_b32 s32, 22                                  // 
_v_cmpx_eq_u32 s[32:33], v132, s32                 // is thread in edge glvw region
v_and_b32 v128, 63, v[vgprSerial]                  // permute register between threads
v_lshlrev_b32 v128, 2, v128                        // permute register between threads
v_mov_b32 v133, v108                               // glvw 7 mb 7 tt1 0 r 0
v_mov_b32 v134, v77                                // glvw 7 mb 7 tt1 0 r 0
v_mov_b32 v135, v109                               // glvw 7 mb 7 tt1 0 r 0
v_mov_b32 v136, v78                                // glvw 7 mb 7 tt1 0 r 0
	;; [unrolled: 2-line block ×3, first 2 shown]
v_mov_b32 v139, v111                               // glvw 7 mb 7 tt1 0 r 0
v_mov_b32 v76, v133                                // 
v_mov_b32 v108, v134                               // 
v_mov_b32 v77, v135                                // 
v_mov_b32 v109, v136                               // 
	;; [unrolled: 2-line block ×3, first 2 shown]
v_mov_b32 v79, v139                                // 
v_mov_b32 v133, v124                               // glvw 7 mb 7 tt1 1 r 0
v_mov_b32 v134, v93                                // glvw 7 mb 7 tt1 1 r 0
v_mov_b32 v135, v125                               // glvw 7 mb 7 tt1 1 r 0
v_mov_b32 v136, v94                                // glvw 7 mb 7 tt1 1 r 0
	;; [unrolled: 2-line block ×3, first 2 shown]
v_mov_b32 v139, v127                               // glvw 7 mb 7 tt1 1 r 0
v_mov_b32 v92, v133                                // 
v_mov_b32 v124, v134                               // 
v_mov_b32 v93, v135                                // 
v_mov_b32 v125, v136                               // 
	;; [unrolled: 2-line block ×3, first 2 shown]
v_mov_b32 v95, v139                                // 
s_mov_b64 s[32:33], 0xFFFFFFFFFFFFFFFF             // to restore all threads active
s_or_saveexec_b64 vcc, s[32:33]                    // all threads active
s_branch label_0172                                // done shifting

label_0172: // end shift0


	;; [unrolled: 1-line block ×3, first 2 shown]
/* not-LocalSplitU: global write indices */

/* computeStoreVgprs */
v_lshrrev_b32 v132, 6, v[vgprSerial]               // v132 = v[vgprSerial] / 64
v_and_b32 v129, 63, v[vgprSerial]                  // v129 = v[vgprSerial] % 64
v_lshrrev_b32 v129, 5, v129                        // v129 = v129 / 32
v_lshlrev_b32 v129, 0x2, v129                      // thread0 * continuous_output
v_lshrrev_b32 v133, 1, v132                        // v133 = v132 / 2
v_mul_lo_u32 v133, 0x20, v133                      // wave coordination offset 1
_v_add_lshl_u32 v129, v133, v129, 1                // coordination 1 = vwb *(wave_id1 + tid1)
v_mul_lo_u32 v130, v129, s[sgprStrideC1J]          //  offset 1
v_mul_lo_u32 v131, v129, s[sgprStrideD1J]          //  offset 1
v_and_b32 v133, 1, v132                            // v133 = v132 % 2
v_mul_lo_u32 v133, 0x20, v133                      // wave coordination offset 0
v_and_b32 v128, 31, v[vgprSerial]                  // v128 = v[vgprSerial] % 32
_v_add_lshl_u32 v128, v133, v128, 1                // coordination 0 = vwa *(wave_id0 + tid0)
s_mul_i32 s31, 128, s[sgprWorkGroup0]              // wgp0 * MT0
_v_add_u32 v128, s31, v128                         // coord 0 = (tid0/MI_m)*4 + waveG0*MIB_m + MT0*SG0
s_mul_i32 s31, 256, s[sgprWorkGroup1]              // wgp1 * MT1
_v_add_u32 v129, s31, v129                         // coord 1 = (tid0%MI_m) + waveG1*MIB_n + MT1*SG1


/* not-LocalSplitU: global write */

s_cmpk_eq_u32 s[sgprBeta], 0x0                     // Beta == 0
s_cbranch_scc0 GW_Beta_203                         // Branch if Beta is not zero

s_and_b32 s32, 127, s[sgprSizeI]                   // s32 = s[sgprSizeI] % 128
s_add_u32 s33, -0x1, s[sgprNumWorkGroups0]         // 
s_cmp_ge_u32 s[sgprWorkGroup0], s33                // wg0 >= nwg0-1 ?
s_cselect_b32 s32, s32, 0                          // set rMT0
s_cmpk_gt_u32 s32, 0x0                             // rMT0 > 0
s_cbranch_scc1 GW_B0_E1_194                        // jump if edges required
s_and_b32 s32, 255, s[sgprSizeJ]                   // s32 = s[sgprSizeJ] % 256
s_add_u32 s33, -0x1, s[sgprNumWorkGroups1]         // 
s_cmp_ge_u32 s[sgprWorkGroup1], s33                // wg1 >= nwg1-1
s_cselect_b32 s32, s32, 0                          // set rMT1
s_cmpk_gt_u32 s32, 0x0                             // rMT1 > 0
s_cbranch_scc1 GW_B0_E1_194                        // jump if edges required
GW_B0_E0_191:

/* edge=0, allocate 2 sgpr. perBatchTmpS=2 perBatchMaskS=0 perElementMaskS=0 elementsPerBatch=56 */
/* optSingleColVgpr=1 optSharedColVgpr=0 optSGPRUsage=BufferLoad_Mask optSrdIncForRow=1 */

/******************************************/
/* Global Write Alpha Batch #0 (d1,d0,vc1,vc0) = */
/*    (0,0,0,0:vw2); (0,0,1,0:vw2); (0,0,2,0:vw2); (0,0,3,0:vw2); (0,0,4,0:vw2); (0,0,5,0:vw2); (0,0,6,0:vw2); (0,0,7,0:vw2); (1,0,0,0:vw2); (1,0,1,0:vw2); (1,0,2,0:vw2); (1,0,3,0:vw2); (1,0,4,0:vw2); (1,0,5,0:vw2); (1,0,6,0:vw2); (1,0,7,0:vw2); (2,0,0,0:vw2); (2,0,1,0:vw2); (2,0,2,0:vw2); (2,0,3,0:vw2); (2,0,4,0:vw2); (2,0,5,0:vw2); (2,0,6,0:vw2); (2,0,7,0:vw2); (3,0,0,0:vw2); (3,0,1,0:vw2); (3,0,2,0:vw2); (3,0,3,0:vw2); (3,0,4,0:vw2); (3,0,5,0:vw2); (3,0,6,0:vw2); (3,0,7,0:vw2); (4,0,0,0:vw2); (4,0,1,0:vw2); (4,0,2,0:vw2); (4,0,3,0:vw2); (4,0,4,0:vw2); (4,0,5,0:vw2); (4,0,6,0:vw2); (4,0,7,0:vw2); (5,0,0,0:vw2); (5,0,1,0:vw2); (5,0,2,0:vw2); (5,0,3,0:vw2); (5,0,4,0:vw2); (5,0,5,0:vw2); (5,0,6,0:vw2); (5,0,7,0:vw2); (6,0,0,0:vw2); (6,0,1,0:vw2); (6,0,2,0:vw2); (6,0,3,0:vw2); (6,0,4,0:vw2); (6,0,5,0:vw2); (6,0,6,0:vw2); (6,0,7,0:vw2) */
/******************************************/

/* calc coords, apply mask, and issue loads (if necessary) */
/* (d1,vc1,d0,vc0)=(0,0,0,0) */
/* (d1,vc1,d0,vc0)=(0,1,0,0) */
	;; [unrolled: 1-line block ×56, first 2 shown]
_v_add_lshl_u32 v138, v131, v128, 0x1              // optSingleColVgpr scaleToBpe: sharedAddrVgpr <- cinRowPtr + coord0, scaled by BPE. BSHERE:coord0=128, coord0Vgpr=128

/* rC *= alpha batchElements=[(0, 0, 0, 0), (0, 0, 1, 0), (0, 0, 2, 0), (0, 0, 3, 0), (0, 0, 4, 0), (0, 0, 5, 0), (0, 0, 6, 0), (0, 0, 7, 0), (1, 0, 0, 0), (1, 0, 1, 0), (1, 0, 2, 0), (1, 0, 3, 0), (1, 0, 4, 0), (1, 0, 5, 0), (1, 0, 6, 0), (1, 0, 7, 0), (2, 0, 0, 0), (2, 0, 1, 0), (2, 0, 2, 0), (2, 0, 3, 0), (2, 0, 4, 0), (2, 0, 5, 0), (2, 0, 6, 0), (2, 0, 7, 0), (3, 0, 0, 0), (3, 0, 1, 0), (3, 0, 2, 0), (3, 0, 3, 0), (3, 0, 4, 0), (3, 0, 5, 0), (3, 0, 6, 0), (3, 0, 7, 0), (4, 0, 0, 0), (4, 0, 1, 0), (4, 0, 2, 0), (4, 0, 3, 0), (4, 0, 4, 0), (4, 0, 5, 0), (4, 0, 6, 0), (4, 0, 7, 0), (5, 0, 0, 0), (5, 0, 1, 0), (5, 0, 2, 0), (5, 0, 3, 0), (5, 0, 4, 0), (5, 0, 5, 0), (5, 0, 6, 0), (5, 0, 7, 0), (6, 0, 0, 0), (6, 0, 1, 0), (6, 0, 2, 0), (6, 0, 3, 0), (6, 0, 4, 0), (6, 0, 5, 0), (6, 0, 6, 0), (6, 0, 7, 0)] */
v_mul_f32 v[vgprValuC+140], s[sgprAlpha], v[vgprValuC+0] // Multiply MI out reg with alpha
v_mul_f32 v[vgprValuC+141], s[sgprAlpha], v[vgprValuC+16] // Multiply MI out reg with alpha
	;; [unrolled: 1-line block ×112, first 2 shown]

/* apply mask, calc new C and issue writes */
v_mov_b32 v135, 0xffff0000                         // mask for pack two bfloat16 element to 32bit
v_mov_b32 v136, 0x7fff0000                         // fp32 Nan
v_mov_b32 v137, 0x7fff                             // rounding bias for bfloat16
v_cmp_u_f32 s[32:33], v[vgprValuC+140], v[vgprValuC+140] // check Nan
v_bfe_u32 v134, v[vgprValuC+140], 16, 1            // Non-Nan case: store lsb of bf16
v_add3_u32 v134, v[vgprValuC+140], v134, v137      // Non-Nan case: add lsb and the increment for rounding
v_cndmask_b32 v[vgprValuC+140], v134, v136, s[32:33] // 
v_lshrrev_b32 v[vgprValuC+140], 16, v[vgprValuC+140] // convert C to bf16
v_cmp_u_f32 s[32:33], v[vgprValuC+141], v[vgprValuC+141] // check Nan
v_bfe_u32 v134, v[vgprValuC+141], 16, 1            // Non-Nan case: store lsb of bf16
v_add3_u32 v134, v[vgprValuC+141], v134, v137      // Non-Nan case: add lsb and the increment for rounding
v_cndmask_b32 v[vgprValuC+141], v134, v136, s[32:33] // 
v_and_or_b32 v140, v[vgprValuC+141], v135, v[vgprValuC+140] // pack two bf16 to dword
_buffer_store_b32 v140, v138, s[sgprSrdD:sgprSrdD+3], 0, offen, offset:0,  glc slc // store D
v_cmp_u_f32 s[32:33], v[vgprValuC+142], v[vgprValuC+142] // check Nan
v_bfe_u32 v134, v[vgprValuC+142], 16, 1            // Non-Nan case: store lsb of bf16
v_add3_u32 v134, v[vgprValuC+142], v134, v137      // Non-Nan case: add lsb and the increment for rounding
v_cndmask_b32 v[vgprValuC+142], v134, v136, s[32:33] // 
v_lshrrev_b32 v[vgprValuC+142], 16, v[vgprValuC+142] // convert C to bf16
v_cmp_u_f32 s[32:33], v[vgprValuC+143], v[vgprValuC+143] // check Nan
v_bfe_u32 v134, v[vgprValuC+143], 16, 1            // Non-Nan case: store lsb of bf16
v_add3_u32 v134, v[vgprValuC+143], v134, v137      // Non-Nan case: add lsb and the increment for rounding
v_cndmask_b32 v[vgprValuC+143], v134, v136, s[32:33] // 
v_and_or_b32 v142, v[vgprValuC+143], v135, v[vgprValuC+142] // pack two bf16 to dword
s_lshl_b32  s32, s[sgprStrideD1J], 1               // incToNextRow: Scale by BPE
s_add_u32  s[sgprSrdD+0], s[sgprSrdD+0], s32       // incToNextRow: gra SRD += inc(lower)
s_addc_u32  s[sgprSrdD+1], s[sgprSrdD+1], 0        // incToNextRow: gra SRD += inc(upper)
_buffer_store_b32 v142, v138, s[sgprSrdD:sgprSrdD+3], 0, offen, offset:0,  glc slc // store D
v_cmp_u_f32 s[32:33], v[vgprValuC+144], v[vgprValuC+144] // check Nan
v_bfe_u32 v134, v[vgprValuC+144], 16, 1            // Non-Nan case: store lsb of bf16
v_add3_u32 v134, v[vgprValuC+144], v134, v137      // Non-Nan case: add lsb and the increment for rounding
v_cndmask_b32 v[vgprValuC+144], v134, v136, s[32:33] // 
v_lshrrev_b32 v[vgprValuC+144], 16, v[vgprValuC+144] // convert C to bf16
v_cmp_u_f32 s[32:33], v[vgprValuC+145], v[vgprValuC+145] // check Nan
v_bfe_u32 v134, v[vgprValuC+145], 16, 1            // Non-Nan case: store lsb of bf16
v_add3_u32 v134, v[vgprValuC+145], v134, v137      // Non-Nan case: add lsb and the increment for rounding
v_cndmask_b32 v[vgprValuC+145], v134, v136, s[32:33] // 
v_and_or_b32 v144, v[vgprValuC+145], v135, v[vgprValuC+144] // pack two bf16 to dword
s_lshl_b32  s32, s[sgprStrideD1J], 1               // incToNextRow: Scale by BPE
s_add_u32  s[sgprSrdD+0], s[sgprSrdD+0], s32       // incToNextRow: gra SRD += inc(lower)
s_addc_u32  s[sgprSrdD+1], s[sgprSrdD+1], 0        // incToNextRow: gra SRD += inc(upper)
	;; [unrolled: 14-line block ×7, first 2 shown]
_buffer_store_b32 v154, v138, s[sgprSrdD:sgprSrdD+3], 0, offen, offset:0,  glc slc // store D
v_cmp_u_f32 s[32:33], v[vgprValuC+156], v[vgprValuC+156] // check Nan
v_bfe_u32 v134, v[vgprValuC+156], 16, 1            // Non-Nan case: store lsb of bf16
v_add3_u32 v134, v[vgprValuC+156], v134, v137      // Non-Nan case: add lsb and the increment for rounding
v_cndmask_b32 v[vgprValuC+156], v134, v136, s[32:33] // 
v_lshrrev_b32 v[vgprValuC+156], 16, v[vgprValuC+156] // convert C to bf16
v_cmp_u_f32 s[32:33], v[vgprValuC+157], v[vgprValuC+157] // check Nan
v_bfe_u32 v134, v[vgprValuC+157], 16, 1            // Non-Nan case: store lsb of bf16
v_add3_u32 v134, v[vgprValuC+157], v134, v137      // Non-Nan case: add lsb and the increment for rounding
v_cndmask_b32 v[vgprValuC+157], v134, v136, s[32:33] // 
v_and_or_b32 v156, v[vgprValuC+157], v135, v[vgprValuC+156] // pack two bf16 to dword
s_mul_i32 s32, s[sgprStrideD1J], 18                // scale StrideD *= numRows(9) * bpe
s_add_u32  s[sgprSrdD+0], s[sgprSrdD+0], s32       // incToNextRow: gra SRD += inc(lower)
s_addc_u32  s[sgprSrdD+1], s[sgprSrdD+1], 0        // incToNextRow: gra SRD += inc(upper)
_buffer_store_b32 v156, v138, s[sgprSrdD:sgprSrdD+3], 0, offen, offset:0,  glc slc // store D
v_cmp_u_f32 s[32:33], v[vgprValuC+158], v[vgprValuC+158] // check Nan
v_bfe_u32 v134, v[vgprValuC+158], 16, 1            // Non-Nan case: store lsb of bf16
v_add3_u32 v134, v[vgprValuC+158], v134, v137      // Non-Nan case: add lsb and the increment for rounding
v_cndmask_b32 v[vgprValuC+158], v134, v136, s[32:33] // 
v_lshrrev_b32 v[vgprValuC+158], 16, v[vgprValuC+158] // convert C to bf16
v_cmp_u_f32 s[32:33], v[vgprValuC+159], v[vgprValuC+159] // check Nan
v_bfe_u32 v134, v[vgprValuC+159], 16, 1            // Non-Nan case: store lsb of bf16
v_add3_u32 v134, v[vgprValuC+159], v134, v137      // Non-Nan case: add lsb and the increment for rounding
v_cndmask_b32 v[vgprValuC+159], v134, v136, s[32:33] // 
v_and_or_b32 v158, v[vgprValuC+159], v135, v[vgprValuC+158] // pack two bf16 to dword
s_lshl_b32  s32, s[sgprStrideD1J], 1               // incToNextRow: Scale by BPE
s_add_u32  s[sgprSrdD+0], s[sgprSrdD+0], s32       // incToNextRow: gra SRD += inc(lower)
s_addc_u32  s[sgprSrdD+1], s[sgprSrdD+1], 0        // incToNextRow: gra SRD += inc(upper)
_buffer_store_b32 v158, v138, s[sgprSrdD:sgprSrdD+3], 0, offen, offset:0,  glc slc // store D
v_cmp_u_f32 s[32:33], v[vgprValuC+160], v[vgprValuC+160] // check Nan
v_bfe_u32 v134, v[vgprValuC+160], 16, 1            // Non-Nan case: store lsb of bf16
v_add3_u32 v134, v[vgprValuC+160], v134, v137      // Non-Nan case: add lsb and the increment for rounding
v_cndmask_b32 v[vgprValuC+160], v134, v136, s[32:33] // 
v_lshrrev_b32 v[vgprValuC+160], 16, v[vgprValuC+160] // convert C to bf16
v_cmp_u_f32 s[32:33], v[vgprValuC+161], v[vgprValuC+161] // check Nan
v_bfe_u32 v134, v[vgprValuC+161], 16, 1            // Non-Nan case: store lsb of bf16
v_add3_u32 v134, v[vgprValuC+161], v134, v137      // Non-Nan case: add lsb and the increment for rounding
v_cndmask_b32 v[vgprValuC+161], v134, v136, s[32:33] // 
v_and_or_b32 v160, v[vgprValuC+161], v135, v[vgprValuC+160] // pack two bf16 to dword
s_lshl_b32  s32, s[sgprStrideD1J], 1               // incToNextRow: Scale by BPE
	;; [unrolled: 14-line block ×7, first 2 shown]
s_add_u32  s[sgprSrdD+0], s[sgprSrdD+0], s32       // incToNextRow: gra SRD += inc(lower)
s_addc_u32  s[sgprSrdD+1], s[sgprSrdD+1], 0        // incToNextRow: gra SRD += inc(upper)
_buffer_store_b32 v170, v138, s[sgprSrdD:sgprSrdD+3], 0, offen, offset:0,  glc slc // store D
v_cmp_u_f32 s[32:33], v[vgprValuC+172], v[vgprValuC+172] // check Nan
v_bfe_u32 v134, v[vgprValuC+172], 16, 1            // Non-Nan case: store lsb of bf16
v_add3_u32 v134, v[vgprValuC+172], v134, v137      // Non-Nan case: add lsb and the increment for rounding
v_cndmask_b32 v[vgprValuC+172], v134, v136, s[32:33] // 
v_lshrrev_b32 v[vgprValuC+172], 16, v[vgprValuC+172] // convert C to bf16
v_cmp_u_f32 s[32:33], v[vgprValuC+173], v[vgprValuC+173] // check Nan
v_bfe_u32 v134, v[vgprValuC+173], 16, 1            // Non-Nan case: store lsb of bf16
v_add3_u32 v134, v[vgprValuC+173], v134, v137      // Non-Nan case: add lsb and the increment for rounding
v_cndmask_b32 v[vgprValuC+173], v134, v136, s[32:33] // 
v_and_or_b32 v172, v[vgprValuC+173], v135, v[vgprValuC+172] // pack two bf16 to dword
s_mul_i32 s32, s[sgprStrideD1J], 18                // scale StrideD *= numRows(9) * bpe
s_add_u32  s[sgprSrdD+0], s[sgprSrdD+0], s32       // incToNextRow: gra SRD += inc(lower)
s_addc_u32  s[sgprSrdD+1], s[sgprSrdD+1], 0        // incToNextRow: gra SRD += inc(upper)
_buffer_store_b32 v172, v138, s[sgprSrdD:sgprSrdD+3], 0, offen, offset:0,  glc slc // store D
v_cmp_u_f32 s[32:33], v[vgprValuC+174], v[vgprValuC+174] // check Nan
v_bfe_u32 v134, v[vgprValuC+174], 16, 1            // Non-Nan case: store lsb of bf16
v_add3_u32 v134, v[vgprValuC+174], v134, v137      // Non-Nan case: add lsb and the increment for rounding
v_cndmask_b32 v[vgprValuC+174], v134, v136, s[32:33] // 
v_lshrrev_b32 v[vgprValuC+174], 16, v[vgprValuC+174] // convert C to bf16
v_cmp_u_f32 s[32:33], v[vgprValuC+175], v[vgprValuC+175] // check Nan
v_bfe_u32 v134, v[vgprValuC+175], 16, 1            // Non-Nan case: store lsb of bf16
v_add3_u32 v134, v[vgprValuC+175], v134, v137      // Non-Nan case: add lsb and the increment for rounding
v_cndmask_b32 v[vgprValuC+175], v134, v136, s[32:33] // 
v_and_or_b32 v174, v[vgprValuC+175], v135, v[vgprValuC+174] // pack two bf16 to dword
s_lshl_b32  s32, s[sgprStrideD1J], 1               // incToNextRow: Scale by BPE
s_add_u32  s[sgprSrdD+0], s[sgprSrdD+0], s32       // incToNextRow: gra SRD += inc(lower)
s_addc_u32  s[sgprSrdD+1], s[sgprSrdD+1], 0        // incToNextRow: gra SRD += inc(upper)
_buffer_store_b32 v174, v138, s[sgprSrdD:sgprSrdD+3], 0, offen, offset:0,  glc slc // store D
v_cmp_u_f32 s[32:33], v[vgprValuC+176], v[vgprValuC+176] // check Nan
v_bfe_u32 v134, v[vgprValuC+176], 16, 1            // Non-Nan case: store lsb of bf16
v_add3_u32 v134, v[vgprValuC+176], v134, v137      // Non-Nan case: add lsb and the increment for rounding
v_cndmask_b32 v[vgprValuC+176], v134, v136, s[32:33] // 
v_lshrrev_b32 v[vgprValuC+176], 16, v[vgprValuC+176] // convert C to bf16
v_cmp_u_f32 s[32:33], v[vgprValuC+177], v[vgprValuC+177] // check Nan
v_bfe_u32 v134, v[vgprValuC+177], 16, 1            // Non-Nan case: store lsb of bf16
v_add3_u32 v134, v[vgprValuC+177], v134, v137      // Non-Nan case: add lsb and the increment for rounding
v_cndmask_b32 v[vgprValuC+177], v134, v136, s[32:33] // 
v_and_or_b32 v176, v[vgprValuC+177], v135, v[vgprValuC+176] // pack two bf16 to dword
s_lshl_b32  s32, s[sgprStrideD1J], 1               // incToNextRow: Scale by BPE
s_add_u32  s[sgprSrdD+0], s[sgprSrdD+0], s32       // incToNextRow: gra SRD += inc(lower)
s_addc_u32  s[sgprSrdD+1], s[sgprSrdD+1], 0        // incToNextRow: gra SRD += inc(upper)
_buffer_store_b32 v176, v138, s[sgprSrdD:sgprSrdD+3], 0, offen, offset:0,  glc slc // store D
v_cmp_u_f32 s[32:33], v[vgprValuC+178], v[vgprValuC+178] // check Nan
v_bfe_u32 v134, v[vgprValuC+178], 16, 1            // Non-Nan case: store lsb of bf16
v_add3_u32 v134, v[vgprValuC+178], v134, v137      // Non-Nan case: add lsb and the increment for rounding
v_cndmask_b32 v[vgprValuC+178], v134, v136, s[32:33] // 
v_lshrrev_b32 v[vgprValuC+178], 16, v[vgprValuC+178] // convert C to bf16
v_cmp_u_f32 s[32:33], v[vgprValuC+179], v[vgprValuC+179] // check Nan
v_bfe_u32 v134, v[vgprValuC+179], 16, 1            // Non-Nan case: store lsb of bf16
v_add3_u32 v134, v[vgprValuC+179], v134, v137      // Non-Nan case: add lsb and the increment for rounding
v_cndmask_b32 v[vgprValuC+179], v134, v136, s[32:33] // 
v_and_or_b32 v178, v[vgprValuC+179], v135, v[vgprValuC+178] // pack two bf16 to dword
s_lshl_b32  s32, s[sgprStrideD1J], 1               // incToNextRow: Scale by BPE
s_add_u32  s[sgprSrdD+0], s[sgprSrdD+0], s32       // incToNextRow: gra SRD += inc(lower)
s_addc_u32  s[sgprSrdD+1], s[sgprSrdD+1], 0        // incToNextRow: gra SRD += inc(upper)
_buffer_store_b32 v178, v138, s[sgprSrdD:sgprSrdD+3], 0, offen, offset:0,  glc slc // store D
v_cmp_u_f32 s[32:33], v[vgprValuC+180], v[vgprValuC+180] // check Nan
v_bfe_u32 v134, v[vgprValuC+180], 16, 1            // Non-Nan case: store lsb of bf16
v_add3_u32 v134, v[vgprValuC+180], v134, v137      // Non-Nan case: add lsb and the increment for rounding
v_cndmask_b32 v[vgprValuC+180], v134, v136, s[32:33] // 
v_lshrrev_b32 v[vgprValuC+180], 16, v[vgprValuC+180] // convert C to bf16
v_cmp_u_f32 s[32:33], v[vgprValuC+181], v[vgprValuC+181] // check Nan
v_bfe_u32 v134, v[vgprValuC+181], 16, 1            // Non-Nan case: store lsb of bf16
v_add3_u32 v134, v[vgprValuC+181], v134, v137      // Non-Nan case: add lsb and the increment for rounding
v_cndmask_b32 v[vgprValuC+181], v134, v136, s[32:33] // 
v_and_or_b32 v180, v[vgprValuC+181], v135, v[vgprValuC+180] // pack two bf16 to dword
s_lshl_b32  s32, s[sgprStrideD1J], 1               // incToNextRow: Scale by BPE
s_add_u32  s[sgprSrdD+0], s[sgprSrdD+0], s32       // incToNextRow: gra SRD += inc(lower)
s_addc_u32  s[sgprSrdD+1], s[sgprSrdD+1], 0        // incToNextRow: gra SRD += inc(upper)
_buffer_store_b32 v180, v138, s[sgprSrdD:sgprSrdD+3], 0, offen, offset:0,  glc slc // store D
v_cmp_u_f32 s[32:33], v[vgprValuC+182], v[vgprValuC+182] // check Nan
v_bfe_u32 v134, v[vgprValuC+182], 16, 1            // Non-Nan case: store lsb of bf16
v_add3_u32 v134, v[vgprValuC+182], v134, v137      // Non-Nan case: add lsb and the increment for rounding
v_cndmask_b32 v[vgprValuC+182], v134, v136, s[32:33] // 
v_lshrrev_b32 v[vgprValuC+182], 16, v[vgprValuC+182] // convert C to bf16
v_cmp_u_f32 s[32:33], v[vgprValuC+183], v[vgprValuC+183] // check Nan
v_bfe_u32 v134, v[vgprValuC+183], 16, 1            // Non-Nan case: store lsb of bf16
v_add3_u32 v134, v[vgprValuC+183], v134, v137      // Non-Nan case: add lsb and the increment for rounding
v_cndmask_b32 v[vgprValuC+183], v134, v136, s[32:33] // 
v_and_or_b32 v182, v[vgprValuC+183], v135, v[vgprValuC+182] // pack two bf16 to dword
s_lshl_b32  s32, s[sgprStrideD1J], 1               // incToNextRow: Scale by BPE
s_add_u32  s[sgprSrdD+0], s[sgprSrdD+0], s32       // incToNextRow: gra SRD += inc(lower)
s_addc_u32  s[sgprSrdD+1], s[sgprSrdD+1], 0        // incToNextRow: gra SRD += inc(upper)
_buffer_store_b32 v182, v138, s[sgprSrdD:sgprSrdD+3], 0, offen, offset:0,  glc slc // store D
v_cmp_u_f32 s[32:33], v[vgprValuC+184], v[vgprValuC+184] // check Nan
v_bfe_u32 v134, v[vgprValuC+184], 16, 1            // Non-Nan case: store lsb of bf16
v_add3_u32 v134, v[vgprValuC+184], v134, v137      // Non-Nan case: add lsb and the increment for rounding
v_cndmask_b32 v[vgprValuC+184], v134, v136, s[32:33] // 
v_lshrrev_b32 v[vgprValuC+184], 16, v[vgprValuC+184] // convert C to bf16
v_cmp_u_f32 s[32:33], v[vgprValuC+185], v[vgprValuC+185] // check Nan
v_bfe_u32 v134, v[vgprValuC+185], 16, 1            // Non-Nan case: store lsb of bf16
v_add3_u32 v134, v[vgprValuC+185], v134, v137      // Non-Nan case: add lsb and the increment for rounding
v_cndmask_b32 v[vgprValuC+185], v134, v136, s[32:33] // 
v_and_or_b32 v184, v[vgprValuC+185], v135, v[vgprValuC+184] // pack two bf16 to dword
s_lshl_b32  s32, s[sgprStrideD1J], 1               // incToNextRow: Scale by BPE
s_add_u32  s[sgprSrdD+0], s[sgprSrdD+0], s32       // incToNextRow: gra SRD += inc(lower)
s_addc_u32  s[sgprSrdD+1], s[sgprSrdD+1], 0        // incToNextRow: gra SRD += inc(upper)
_buffer_store_b32 v184, v138, s[sgprSrdD:sgprSrdD+3], 0, offen, offset:0,  glc slc // store D
v_cmp_u_f32 s[32:33], v[vgprValuC+186], v[vgprValuC+186] // check Nan
v_bfe_u32 v134, v[vgprValuC+186], 16, 1            // Non-Nan case: store lsb of bf16
v_add3_u32 v134, v[vgprValuC+186], v134, v137      // Non-Nan case: add lsb and the increment for rounding
v_cndmask_b32 v[vgprValuC+186], v134, v136, s[32:33] // 
v_lshrrev_b32 v[vgprValuC+186], 16, v[vgprValuC+186] // convert C to bf16
v_cmp_u_f32 s[32:33], v[vgprValuC+187], v[vgprValuC+187] // check Nan
v_bfe_u32 v134, v[vgprValuC+187], 16, 1            // Non-Nan case: store lsb of bf16
v_add3_u32 v134, v[vgprValuC+187], v134, v137      // Non-Nan case: add lsb and the increment for rounding
v_cndmask_b32 v[vgprValuC+187], v134, v136, s[32:33] // 
v_and_or_b32 v186, v[vgprValuC+187], v135, v[vgprValuC+186] // pack two bf16 to dword
s_lshl_b32  s32, s[sgprStrideD1J], 1               // incToNextRow: Scale by BPE
s_add_u32  s[sgprSrdD+0], s[sgprSrdD+0], s32       // incToNextRow: gra SRD += inc(lower)
s_addc_u32  s[sgprSrdD+1], s[sgprSrdD+1], 0        // incToNextRow: gra SRD += inc(upper)
_buffer_store_b32 v186, v138, s[sgprSrdD:sgprSrdD+3], 0, offen, offset:0,  glc slc // store D
v_cmp_u_f32 s[32:33], v[vgprValuC+188], v[vgprValuC+188] // check Nan
v_bfe_u32 v134, v[vgprValuC+188], 16, 1            // Non-Nan case: store lsb of bf16
v_add3_u32 v134, v[vgprValuC+188], v134, v137      // Non-Nan case: add lsb and the increment for rounding
v_cndmask_b32 v[vgprValuC+188], v134, v136, s[32:33] // 
v_lshrrev_b32 v[vgprValuC+188], 16, v[vgprValuC+188] // convert C to bf16
v_cmp_u_f32 s[32:33], v[vgprValuC+189], v[vgprValuC+189] // check Nan
v_bfe_u32 v134, v[vgprValuC+189], 16, 1            // Non-Nan case: store lsb of bf16
v_add3_u32 v134, v[vgprValuC+189], v134, v137      // Non-Nan case: add lsb and the increment for rounding
v_cndmask_b32 v[vgprValuC+189], v134, v136, s[32:33] // 
v_and_or_b32 v188, v[vgprValuC+189], v135, v[vgprValuC+188] // pack two bf16 to dword
s_mul_i32 s32, s[sgprStrideD1J], 18                // scale StrideD *= numRows(9) * bpe
s_add_u32  s[sgprSrdD+0], s[sgprSrdD+0], s32       // incToNextRow: gra SRD += inc(lower)
s_addc_u32  s[sgprSrdD+1], s[sgprSrdD+1], 0        // incToNextRow: gra SRD += inc(upper)
_buffer_store_b32 v188, v138, s[sgprSrdD:sgprSrdD+3], 0, offen, offset:0,  glc slc // store D
v_cmp_u_f32 s[32:33], v[vgprValuC+190], v[vgprValuC+190] // check Nan
v_bfe_u32 v134, v[vgprValuC+190], 16, 1            // Non-Nan case: store lsb of bf16
v_add3_u32 v134, v[vgprValuC+190], v134, v137      // Non-Nan case: add lsb and the increment for rounding
v_cndmask_b32 v[vgprValuC+190], v134, v136, s[32:33] // 
v_lshrrev_b32 v[vgprValuC+190], 16, v[vgprValuC+190] // convert C to bf16
v_cmp_u_f32 s[32:33], v[vgprValuC+191], v[vgprValuC+191] // check Nan
v_bfe_u32 v134, v[vgprValuC+191], 16, 1            // Non-Nan case: store lsb of bf16
v_add3_u32 v134, v[vgprValuC+191], v134, v137      // Non-Nan case: add lsb and the increment for rounding
v_cndmask_b32 v[vgprValuC+191], v134, v136, s[32:33] // 
v_and_or_b32 v190, v[vgprValuC+191], v135, v[vgprValuC+190] // pack two bf16 to dword
s_lshl_b32  s32, s[sgprStrideD1J], 1               // incToNextRow: Scale by BPE
s_add_u32  s[sgprSrdD+0], s[sgprSrdD+0], s32       // incToNextRow: gra SRD += inc(lower)
s_addc_u32  s[sgprSrdD+1], s[sgprSrdD+1], 0        // incToNextRow: gra SRD += inc(upper)
_buffer_store_b32 v190, v138, s[sgprSrdD:sgprSrdD+3], 0, offen, offset:0,  glc slc // store D
v_cmp_u_f32 s[32:33], v[vgprValuC+192], v[vgprValuC+192] // check Nan
v_bfe_u32 v134, v[vgprValuC+192], 16, 1            // Non-Nan case: store lsb of bf16
v_add3_u32 v134, v[vgprValuC+192], v134, v137      // Non-Nan case: add lsb and the increment for rounding
v_cndmask_b32 v[vgprValuC+192], v134, v136, s[32:33] // 
v_lshrrev_b32 v[vgprValuC+192], 16, v[vgprValuC+192] // convert C to bf16
v_cmp_u_f32 s[32:33], v[vgprValuC+193], v[vgprValuC+193] // check Nan
v_bfe_u32 v134, v[vgprValuC+193], 16, 1            // Non-Nan case: store lsb of bf16
v_add3_u32 v134, v[vgprValuC+193], v134, v137      // Non-Nan case: add lsb and the increment for rounding
v_cndmask_b32 v[vgprValuC+193], v134, v136, s[32:33] // 
v_and_or_b32 v192, v[vgprValuC+193], v135, v[vgprValuC+192] // pack two bf16 to dword
s_lshl_b32  s32, s[sgprStrideD1J], 1               // incToNextRow: Scale by BPE
	;; [unrolled: 14-line block ×7, first 2 shown]
s_add_u32  s[sgprSrdD+0], s[sgprSrdD+0], s32       // incToNextRow: gra SRD += inc(lower)
s_addc_u32  s[sgprSrdD+1], s[sgprSrdD+1], 0        // incToNextRow: gra SRD += inc(upper)
_buffer_store_b32 v202, v138, s[sgprSrdD:sgprSrdD+3], 0, offen, offset:0,  glc slc // store D
v_cmp_u_f32 s[32:33], v[vgprValuC+204], v[vgprValuC+204] // check Nan
v_bfe_u32 v134, v[vgprValuC+204], 16, 1            // Non-Nan case: store lsb of bf16
v_add3_u32 v134, v[vgprValuC+204], v134, v137      // Non-Nan case: add lsb and the increment for rounding
v_cndmask_b32 v[vgprValuC+204], v134, v136, s[32:33] // 
v_lshrrev_b32 v[vgprValuC+204], 16, v[vgprValuC+204] // convert C to bf16
v_cmp_u_f32 s[32:33], v[vgprValuC+205], v[vgprValuC+205] // check Nan
v_bfe_u32 v134, v[vgprValuC+205], 16, 1            // Non-Nan case: store lsb of bf16
v_add3_u32 v134, v[vgprValuC+205], v134, v137      // Non-Nan case: add lsb and the increment for rounding
v_cndmask_b32 v[vgprValuC+205], v134, v136, s[32:33] // 
v_and_or_b32 v204, v[vgprValuC+205], v135, v[vgprValuC+204] // pack two bf16 to dword
s_mul_i32 s32, s[sgprStrideD1J], 146               // scale StrideD *= numRows(73) * bpe
s_add_u32  s[sgprSrdD+0], s[sgprSrdD+0], s32       // incToNextRow: gra SRD += inc(lower)
s_addc_u32  s[sgprSrdD+1], s[sgprSrdD+1], 0        // incToNextRow: gra SRD += inc(upper)
_buffer_store_b32 v204, v138, s[sgprSrdD:sgprSrdD+3], 0, offen, offset:0,  glc slc // store D
v_cmp_u_f32 s[32:33], v[vgprValuC+206], v[vgprValuC+206] // check Nan
v_bfe_u32 v134, v[vgprValuC+206], 16, 1            // Non-Nan case: store lsb of bf16
v_add3_u32 v134, v[vgprValuC+206], v134, v137      // Non-Nan case: add lsb and the increment for rounding
v_cndmask_b32 v[vgprValuC+206], v134, v136, s[32:33] // 
v_lshrrev_b32 v[vgprValuC+206], 16, v[vgprValuC+206] // convert C to bf16
v_cmp_u_f32 s[32:33], v[vgprValuC+207], v[vgprValuC+207] // check Nan
v_bfe_u32 v134, v[vgprValuC+207], 16, 1            // Non-Nan case: store lsb of bf16
v_add3_u32 v134, v[vgprValuC+207], v134, v137      // Non-Nan case: add lsb and the increment for rounding
v_cndmask_b32 v[vgprValuC+207], v134, v136, s[32:33] // 
v_and_or_b32 v206, v[vgprValuC+207], v135, v[vgprValuC+206] // pack two bf16 to dword
s_lshl_b32  s32, s[sgprStrideD1J], 1               // incToNextRow: Scale by BPE
s_add_u32  s[sgprSrdD+0], s[sgprSrdD+0], s32       // incToNextRow: gra SRD += inc(lower)
s_addc_u32  s[sgprSrdD+1], s[sgprSrdD+1], 0        // incToNextRow: gra SRD += inc(upper)
_buffer_store_b32 v206, v138, s[sgprSrdD:sgprSrdD+3], 0, offen, offset:0,  glc slc // store D
v_cmp_u_f32 s[32:33], v[vgprValuC+212], v[vgprValuC+212] // check Nan
v_bfe_u32 v134, v[vgprValuC+212], 16, 1            // Non-Nan case: store lsb of bf16
v_add3_u32 v134, v[vgprValuC+212], v134, v137      // Non-Nan case: add lsb and the increment for rounding
v_cndmask_b32 v[vgprValuC+212], v134, v136, s[32:33] // 
v_lshrrev_b32 v[vgprValuC+212], 16, v[vgprValuC+212] // convert C to bf16
v_cmp_u_f32 s[32:33], v[vgprValuC+213], v[vgprValuC+213] // check Nan
v_bfe_u32 v134, v[vgprValuC+213], 16, 1            // Non-Nan case: store lsb of bf16
v_add3_u32 v134, v[vgprValuC+213], v134, v137      // Non-Nan case: add lsb and the increment for rounding
v_cndmask_b32 v[vgprValuC+213], v134, v136, s[32:33] // 
v_and_or_b32 v212, v[vgprValuC+213], v135, v[vgprValuC+212] // pack two bf16 to dword
s_lshl_b32  s32, s[sgprStrideD1J], 1               // incToNextRow: Scale by BPE
	;; [unrolled: 14-line block ×7, first 2 shown]
s_add_u32  s[sgprSrdD+0], s[sgprSrdD+0], s32       // incToNextRow: gra SRD += inc(lower)
s_addc_u32  s[sgprSrdD+1], s[sgprSrdD+1], 0        // incToNextRow: gra SRD += inc(upper)
_buffer_store_b32 v222, v138, s[sgprSrdD:sgprSrdD+3], 0, offen, offset:0,  glc slc // store D
v_cmp_u_f32 s[32:33], v[vgprValuC+224], v[vgprValuC+224] // check Nan
v_bfe_u32 v134, v[vgprValuC+224], 16, 1            // Non-Nan case: store lsb of bf16
v_add3_u32 v134, v[vgprValuC+224], v134, v137      // Non-Nan case: add lsb and the increment for rounding
v_cndmask_b32 v[vgprValuC+224], v134, v136, s[32:33] // 
v_lshrrev_b32 v[vgprValuC+224], 16, v[vgprValuC+224] // convert C to bf16
v_cmp_u_f32 s[32:33], v[vgprValuC+225], v[vgprValuC+225] // check Nan
v_bfe_u32 v134, v[vgprValuC+225], 16, 1            // Non-Nan case: store lsb of bf16
v_add3_u32 v134, v[vgprValuC+225], v134, v137      // Non-Nan case: add lsb and the increment for rounding
v_cndmask_b32 v[vgprValuC+225], v134, v136, s[32:33] // 
v_and_or_b32 v224, v[vgprValuC+225], v135, v[vgprValuC+224] // pack two bf16 to dword
s_mul_i32 s32, s[sgprStrideD1J], 18                // scale StrideD *= numRows(9) * bpe
s_add_u32  s[sgprSrdD+0], s[sgprSrdD+0], s32       // incToNextRow: gra SRD += inc(lower)
s_addc_u32  s[sgprSrdD+1], s[sgprSrdD+1], 0        // incToNextRow: gra SRD += inc(upper)
_buffer_store_b32 v224, v138, s[sgprSrdD:sgprSrdD+3], 0, offen, offset:0,  glc slc // store D
v_cmp_u_f32 s[32:33], v[vgprValuC+226], v[vgprValuC+226] // check Nan
v_bfe_u32 v134, v[vgprValuC+226], 16, 1            // Non-Nan case: store lsb of bf16
v_add3_u32 v134, v[vgprValuC+226], v134, v137      // Non-Nan case: add lsb and the increment for rounding
v_cndmask_b32 v[vgprValuC+226], v134, v136, s[32:33] // 
v_lshrrev_b32 v[vgprValuC+226], 16, v[vgprValuC+226] // convert C to bf16
v_cmp_u_f32 s[32:33], v[vgprValuC+227], v[vgprValuC+227] // check Nan
v_bfe_u32 v134, v[vgprValuC+227], 16, 1            // Non-Nan case: store lsb of bf16
v_add3_u32 v134, v[vgprValuC+227], v134, v137      // Non-Nan case: add lsb and the increment for rounding
v_cndmask_b32 v[vgprValuC+227], v134, v136, s[32:33] // 
v_and_or_b32 v226, v[vgprValuC+227], v135, v[vgprValuC+226] // pack two bf16 to dword
s_lshl_b32  s32, s[sgprStrideD1J], 1               // incToNextRow: Scale by BPE
s_add_u32  s[sgprSrdD+0], s[sgprSrdD+0], s32       // incToNextRow: gra SRD += inc(lower)
s_addc_u32  s[sgprSrdD+1], s[sgprSrdD+1], 0        // incToNextRow: gra SRD += inc(upper)
_buffer_store_b32 v226, v138, s[sgprSrdD:sgprSrdD+3], 0, offen, offset:0,  glc slc // store D
v_cmp_u_f32 s[32:33], v[vgprValuC+228], v[vgprValuC+228] // check Nan
v_bfe_u32 v134, v[vgprValuC+228], 16, 1            // Non-Nan case: store lsb of bf16
v_add3_u32 v134, v[vgprValuC+228], v134, v137      // Non-Nan case: add lsb and the increment for rounding
v_cndmask_b32 v[vgprValuC+228], v134, v136, s[32:33] // 
v_lshrrev_b32 v[vgprValuC+228], 16, v[vgprValuC+228] // convert C to bf16
v_cmp_u_f32 s[32:33], v[vgprValuC+229], v[vgprValuC+229] // check Nan
v_bfe_u32 v134, v[vgprValuC+229], 16, 1            // Non-Nan case: store lsb of bf16
v_add3_u32 v134, v[vgprValuC+229], v134, v137      // Non-Nan case: add lsb and the increment for rounding
v_cndmask_b32 v[vgprValuC+229], v134, v136, s[32:33] // 
v_and_or_b32 v228, v[vgprValuC+229], v135, v[vgprValuC+228] // pack two bf16 to dword
s_lshl_b32  s32, s[sgprStrideD1J], 1               // incToNextRow: Scale by BPE
	;; [unrolled: 14-line block ×7, first 2 shown]
s_add_u32  s[sgprSrdD+0], s[sgprSrdD+0], s32       // incToNextRow: gra SRD += inc(lower)
s_addc_u32  s[sgprSrdD+1], s[sgprSrdD+1], 0        // incToNextRow: gra SRD += inc(upper)
_buffer_store_b32 v238, v138, s[sgprSrdD:sgprSrdD+3], 0, offen, offset:0,  glc slc // store D
v_cmp_u_f32 s[32:33], v[vgprValuC+240], v[vgprValuC+240] // check Nan
v_bfe_u32 v134, v[vgprValuC+240], 16, 1            // Non-Nan case: store lsb of bf16
v_add3_u32 v134, v[vgprValuC+240], v134, v137      // Non-Nan case: add lsb and the increment for rounding
v_cndmask_b32 v[vgprValuC+240], v134, v136, s[32:33] // 
v_lshrrev_b32 v[vgprValuC+240], 16, v[vgprValuC+240] // convert C to bf16
v_cmp_u_f32 s[32:33], v[vgprValuC+241], v[vgprValuC+241] // check Nan
v_bfe_u32 v134, v[vgprValuC+241], 16, 1            // Non-Nan case: store lsb of bf16
v_add3_u32 v134, v[vgprValuC+241], v134, v137      // Non-Nan case: add lsb and the increment for rounding
v_cndmask_b32 v[vgprValuC+241], v134, v136, s[32:33] // 
v_and_or_b32 v240, v[vgprValuC+241], v135, v[vgprValuC+240] // pack two bf16 to dword
s_mul_i32 s32, s[sgprStrideD1J], 18                // scale StrideD *= numRows(9) * bpe
s_add_u32  s[sgprSrdD+0], s[sgprSrdD+0], s32       // incToNextRow: gra SRD += inc(lower)
s_addc_u32  s[sgprSrdD+1], s[sgprSrdD+1], 0        // incToNextRow: gra SRD += inc(upper)
_buffer_store_b32 v240, v138, s[sgprSrdD:sgprSrdD+3], 0, offen, offset:0,  glc slc // store D
v_cmp_u_f32 s[32:33], v[vgprValuC+242], v[vgprValuC+242] // check Nan
v_bfe_u32 v134, v[vgprValuC+242], 16, 1            // Non-Nan case: store lsb of bf16
v_add3_u32 v134, v[vgprValuC+242], v134, v137      // Non-Nan case: add lsb and the increment for rounding
v_cndmask_b32 v[vgprValuC+242], v134, v136, s[32:33] // 
v_lshrrev_b32 v[vgprValuC+242], 16, v[vgprValuC+242] // convert C to bf16
v_cmp_u_f32 s[32:33], v[vgprValuC+243], v[vgprValuC+243] // check Nan
v_bfe_u32 v134, v[vgprValuC+243], 16, 1            // Non-Nan case: store lsb of bf16
v_add3_u32 v134, v[vgprValuC+243], v134, v137      // Non-Nan case: add lsb and the increment for rounding
v_cndmask_b32 v[vgprValuC+243], v134, v136, s[32:33] // 
v_and_or_b32 v242, v[vgprValuC+243], v135, v[vgprValuC+242] // pack two bf16 to dword
s_lshl_b32  s32, s[sgprStrideD1J], 1               // incToNextRow: Scale by BPE
s_add_u32  s[sgprSrdD+0], s[sgprSrdD+0], s32       // incToNextRow: gra SRD += inc(lower)
s_addc_u32  s[sgprSrdD+1], s[sgprSrdD+1], 0        // incToNextRow: gra SRD += inc(upper)
_buffer_store_b32 v242, v138, s[sgprSrdD:sgprSrdD+3], 0, offen, offset:0,  glc slc // store D
v_cmp_u_f32 s[32:33], v[vgprValuC+244], v[vgprValuC+244] // check Nan
v_bfe_u32 v134, v[vgprValuC+244], 16, 1            // Non-Nan case: store lsb of bf16
v_add3_u32 v134, v[vgprValuC+244], v134, v137      // Non-Nan case: add lsb and the increment for rounding
v_cndmask_b32 v[vgprValuC+244], v134, v136, s[32:33] // 
v_lshrrev_b32 v[vgprValuC+244], 16, v[vgprValuC+244] // convert C to bf16
v_cmp_u_f32 s[32:33], v[vgprValuC+245], v[vgprValuC+245] // check Nan
v_bfe_u32 v134, v[vgprValuC+245], 16, 1            // Non-Nan case: store lsb of bf16
v_add3_u32 v134, v[vgprValuC+245], v134, v137      // Non-Nan case: add lsb and the increment for rounding
v_cndmask_b32 v[vgprValuC+245], v134, v136, s[32:33] // 
v_and_or_b32 v244, v[vgprValuC+245], v135, v[vgprValuC+244] // pack two bf16 to dword
s_lshl_b32  s32, s[sgprStrideD1J], 1               // incToNextRow: Scale by BPE
	;; [unrolled: 14-line block ×7, first 2 shown]
s_add_u32  s[sgprSrdD+0], s[sgprSrdD+0], s32       // incToNextRow: gra SRD += inc(lower)
s_addc_u32  s[sgprSrdD+1], s[sgprSrdD+1], 0        // incToNextRow: gra SRD += inc(upper)
_buffer_store_b32 v254, v138, s[sgprSrdD:sgprSrdD+3], 0, offen, offset:0,  glc slc // store D
s_nop 0                                            // 1 wait state required when next inst writes vgprs held by previous dwordx4 store inst
/* optSingleColVgpr=1 optSharedColVgpr=0 optSGPRUsage=BufferLoad_Mask optSrdIncForRow=1 */

/******************************************/
/* Global Write Alpha Batch #1 (d1,d0,vc1,vc0) = */
/*    (7,0,0,0:vw2); (7,0,1,0:vw2); (7,0,2,0:vw2); (7,0,3,0:vw2); (7,0,4,0:vw2); (7,0,5,0:vw2); (7,0,6,0:vw2); (7,0,7,0:vw2) */
/******************************************/

/* calc coords, apply mask, and issue loads (if necessary) */
/* (d1,vc1,d0,vc0)=(7,0,0,0) */
/* (d1,vc1,d0,vc0)=(7,1,0,0) */
	;; [unrolled: 1-line block ×8, first 2 shown]

/* rC *= alpha batchElements=[(7, 0, 0, 0), (7, 0, 1, 0), (7, 0, 2, 0), (7, 0, 3, 0), (7, 0, 4, 0), (7, 0, 5, 0), (7, 0, 6, 0), (7, 0, 7, 0)] */
v_mul_f32 v[vgprValuC+140], s[sgprAlpha], v[vgprValuC+76] // Multiply MI out reg with alpha
v_mul_f32 v[vgprValuC+141], s[sgprAlpha], v[vgprValuC+92] // Multiply MI out reg with alpha
	;; [unrolled: 1-line block ×16, first 2 shown]

/* apply mask, calc new C and issue writes */
v_mov_b32 v135, 0xffff0000                         // mask for pack two bfloat16 element to 32bit
v_mov_b32 v136, 0x7fff0000                         // fp32 Nan
v_mov_b32 v137, 0x7fff                             // rounding bias for bfloat16
v_cmp_u_f32 s[32:33], v[vgprValuC+140], v[vgprValuC+140] // check Nan
v_bfe_u32 v134, v[vgprValuC+140], 16, 1            // Non-Nan case: store lsb of bf16
v_add3_u32 v134, v[vgprValuC+140], v134, v137      // Non-Nan case: add lsb and the increment for rounding
v_cndmask_b32 v[vgprValuC+140], v134, v136, s[32:33] // 
v_lshrrev_b32 v[vgprValuC+140], 16, v[vgprValuC+140] // convert C to bf16
v_cmp_u_f32 s[32:33], v[vgprValuC+141], v[vgprValuC+141] // check Nan
v_bfe_u32 v134, v[vgprValuC+141], 16, 1            // Non-Nan case: store lsb of bf16
v_add3_u32 v134, v[vgprValuC+141], v134, v137      // Non-Nan case: add lsb and the increment for rounding
v_cndmask_b32 v[vgprValuC+141], v134, v136, s[32:33] // 
v_and_or_b32 v140, v[vgprValuC+141], v135, v[vgprValuC+140] // pack two bf16 to dword
s_mul_i32 s32, s[sgprStrideD1J], 18                // scale StrideD *= numRows(9) * bpe
s_add_u32  s[sgprSrdD+0], s[sgprSrdD+0], s32       // incToNextRow: gra SRD += inc(lower)
s_addc_u32  s[sgprSrdD+1], s[sgprSrdD+1], 0        // incToNextRow: gra SRD += inc(upper)
_buffer_store_b32 v140, v138, s[sgprSrdD:sgprSrdD+3], 0, offen, offset:0,  glc slc // store D
v_cmp_u_f32 s[32:33], v[vgprValuC+142], v[vgprValuC+142] // check Nan
v_bfe_u32 v134, v[vgprValuC+142], 16, 1            // Non-Nan case: store lsb of bf16
v_add3_u32 v134, v[vgprValuC+142], v134, v137      // Non-Nan case: add lsb and the increment for rounding
v_cndmask_b32 v[vgprValuC+142], v134, v136, s[32:33] // 
v_lshrrev_b32 v[vgprValuC+142], 16, v[vgprValuC+142] // convert C to bf16
v_cmp_u_f32 s[32:33], v[vgprValuC+143], v[vgprValuC+143] // check Nan
v_bfe_u32 v134, v[vgprValuC+143], 16, 1            // Non-Nan case: store lsb of bf16
v_add3_u32 v134, v[vgprValuC+143], v134, v137      // Non-Nan case: add lsb and the increment for rounding
v_cndmask_b32 v[vgprValuC+143], v134, v136, s[32:33] // 
v_and_or_b32 v142, v[vgprValuC+143], v135, v[vgprValuC+142] // pack two bf16 to dword
s_lshl_b32  s32, s[sgprStrideD1J], 1               // incToNextRow: Scale by BPE
s_add_u32  s[sgprSrdD+0], s[sgprSrdD+0], s32       // incToNextRow: gra SRD += inc(lower)
s_addc_u32  s[sgprSrdD+1], s[sgprSrdD+1], 0        // incToNextRow: gra SRD += inc(upper)
_buffer_store_b32 v142, v138, s[sgprSrdD:sgprSrdD+3], 0, offen, offset:0,  glc slc // store D
v_cmp_u_f32 s[32:33], v[vgprValuC+144], v[vgprValuC+144] // check Nan
v_bfe_u32 v134, v[vgprValuC+144], 16, 1            // Non-Nan case: store lsb of bf16
v_add3_u32 v134, v[vgprValuC+144], v134, v137      // Non-Nan case: add lsb and the increment for rounding
v_cndmask_b32 v[vgprValuC+144], v134, v136, s[32:33] // 
v_lshrrev_b32 v[vgprValuC+144], 16, v[vgprValuC+144] // convert C to bf16
v_cmp_u_f32 s[32:33], v[vgprValuC+145], v[vgprValuC+145] // check Nan
v_bfe_u32 v134, v[vgprValuC+145], 16, 1            // Non-Nan case: store lsb of bf16
v_add3_u32 v134, v[vgprValuC+145], v134, v137      // Non-Nan case: add lsb and the increment for rounding
v_cndmask_b32 v[vgprValuC+145], v134, v136, s[32:33] // 
v_and_or_b32 v144, v[vgprValuC+145], v135, v[vgprValuC+144] // pack two bf16 to dword
s_lshl_b32  s32, s[sgprStrideD1J], 1               // incToNextRow: Scale by BPE
	;; [unrolled: 14-line block ×7, first 2 shown]
s_add_u32  s[sgprSrdD+0], s[sgprSrdD+0], s32       // incToNextRow: gra SRD += inc(lower)
s_addc_u32  s[sgprSrdD+1], s[sgprSrdD+1], 0        // incToNextRow: gra SRD += inc(upper)
_buffer_store_b32 v154, v138, s[sgprSrdD:sgprSrdD+3], 0, offen, offset:0,  glc slc // store D
s_nop 0                                            // 1 wait state required when next inst writes vgprs held by previous dwordx4 store inst
s_branch label_GW_End_202                          // jump to end
GW_B0_E1_194:

/* edge=1, allocate 6 sgpr. perBatchTmpS=4 perBatchMaskS=2 perElementMaskS=0 elementsPerBatch=56 */
/* optSingleColVgpr=0 optSharedColVgpr=0 optSGPRUsage=BufferLoad_Edge_Mask optSrdIncForRow=0 */

/******************************************/
/* Global Write Alpha Edge Batch #0 (d1,d0,vc1,vc0) = */
/*    (0,0,0,0:vw1); (0,0,0,1:vw1); (0,0,1,0:vw1); (0,0,1,1:vw1); (0,0,2,0:vw1); (0,0,2,1:vw1); (0,0,3,0:vw1); (0,0,3,1:vw1); (0,0,4,0:vw1); (0,0,4,1:vw1); (0,0,5,0:vw1); (0,0,5,1:vw1); (0,0,6,0:vw1); (0,0,6,1:vw1); (0,0,7,0:vw1); (0,0,7,1:vw1); (1,0,0,0:vw1); (1,0,0,1:vw1); (1,0,1,0:vw1); (1,0,1,1:vw1); (1,0,2,0:vw1); (1,0,2,1:vw1); (1,0,3,0:vw1); (1,0,3,1:vw1); (1,0,4,0:vw1); (1,0,4,1:vw1); (1,0,5,0:vw1); (1,0,5,1:vw1); (1,0,6,0:vw1); (1,0,6,1:vw1); (1,0,7,0:vw1); (1,0,7,1:vw1); (2,0,0,0:vw1); (2,0,0,1:vw1); (2,0,1,0:vw1); (2,0,1,1:vw1); (2,0,2,0:vw1); (2,0,2,1:vw1); (2,0,3,0:vw1); (2,0,3,1:vw1); (2,0,4,0:vw1); (2,0,4,1:vw1); (2,0,5,0:vw1); (2,0,5,1:vw1); (2,0,6,0:vw1); (2,0,6,1:vw1); (2,0,7,0:vw1); (2,0,7,1:vw1); (3,0,0,0:vw1); (3,0,0,1:vw1); (3,0,1,0:vw1); (3,0,1,1:vw1); (3,0,2,0:vw1); (3,0,2,1:vw1); (3,0,3,0:vw1); (3,0,3,1:vw1) */
/******************************************/

/* calc coords, apply mask, and issue loads (if necessary) */
/* (d1,vc1,d0,vc0)=(0,0,0,0) */
v_cmp_lt_u32 s[52:53], v128, s[sgprSizeI]          // coord0 < size0
v_cmp_lt_u32 s[56:57], v129, s[sgprSizeJ]          // coord1 < size1
s_and_b64 s[56:57], s[52:53], s[56:57]             // in0 && in1
_v_add_lshl_u32 v138, v131, v128, 0x1              // scaleToBpe: accumulate d0 lower and *= bpe into Cin addr
v_cndmask_b32 v138, -1, v138, s[56:57]             // LDD clip if OOB. offset
/* (d1,vc1,d0,vc0)=(0,0,0,1) */
_v_add_co_u32 v132, vcc, v128, 1                   // coord0.1: coord0 += d0*sg0*VW + vc0
v_cmp_lt_u32 s[52:53], v132, s[sgprSizeI]          // coord0 < size0
v_cmp_lt_u32 s[56:57], v129, s[sgprSizeJ]          // coord1 < size1
s_and_b64 s[56:57], s[52:53], s[56:57]             // in0 && in1
_v_add_lshl_u32 v140, v131, v132, 0x1              // scaleToBpe: accumulate d0 lower and *= bpe into Cin addr
v_cndmask_b32 v140, -1, v140, s[56:57]             // LDD clip if OOB. offset
/* (d1,vc1,d0,vc0)=(0,1,0,0) */
_v_add_co_u32 v129, vcc, v129, 1                   // coord1.1: coord1Vgpr += d1*sg1*VW + vc1

/* Fix for UseInitialStridesCD, emitAddressSetupCode */
_v_add_u32 v130, v130, s[sgprStrideC1J]            // ROWINC- Move cinRowPtr to next row
_v_add_u32 v131, v131, s[sgprStrideD1J]            // Move coutRowPtr to next row
v_cmp_lt_u32 s[52:53], v128, s[sgprSizeI]          // coord0 < size0
v_cmp_lt_u32 s[56:57], v129, s[sgprSizeJ]          // coord1 < size1
s_and_b64 s[56:57], s[52:53], s[56:57]             // in0 && in1
_v_add_lshl_u32 v142, v131, v128, 0x1              // scaleToBpe: accumulate d0 lower and *= bpe into Cin addr
v_cndmask_b32 v142, -1, v142, s[56:57]             // LDD clip if OOB. offset
/* (d1,vc1,d0,vc0)=(0,1,0,1) */
_v_add_co_u32 v132, vcc, v128, 1                   // coord0.1: coord0 += d0*sg0*VW + vc0
v_cmp_lt_u32 s[52:53], v132, s[sgprSizeI]          // coord0 < size0
v_cmp_lt_u32 s[56:57], v129, s[sgprSizeJ]          // coord1 < size1
s_and_b64 s[56:57], s[52:53], s[56:57]             // in0 && in1
_v_add_lshl_u32 v144, v131, v132, 0x1              // scaleToBpe: accumulate d0 lower and *= bpe into Cin addr
v_cndmask_b32 v144, -1, v144, s[56:57]             // LDD clip if OOB. offset
/* (d1,vc1,d0,vc0)=(0,2,0,0) */
_v_add_co_u32 v129, vcc, v129, 1                   // coord1.1: coord1Vgpr += d1*sg1*VW + vc1

/* Fix for UseInitialStridesCD, emitAddressSetupCode */
_v_add_u32 v130, v130, s[sgprStrideC1J]            // ROWINC- Move cinRowPtr to next row
_v_add_u32 v131, v131, s[sgprStrideD1J]            // Move coutRowPtr to next row
	;; [unrolled: 18-line block ×7, first 2 shown]
v_cmp_lt_u32 s[52:53], v128, s[sgprSizeI]          // coord0 < size0
v_cmp_lt_u32 s[56:57], v129, s[sgprSizeJ]          // coord1 < size1
s_and_b64 s[56:57], s[52:53], s[56:57]             // in0 && in1
_v_add_lshl_u32 v166, v131, v128, 0x1              // scaleToBpe: accumulate d0 lower and *= bpe into Cin addr
v_cndmask_b32 v166, -1, v166, s[56:57]             // LDD clip if OOB. offset
/* (d1,vc1,d0,vc0)=(0,7,0,1) */
_v_add_co_u32 v132, vcc, v128, 1                   // coord0.1: coord0 += d0*sg0*VW + vc0
v_cmp_lt_u32 s[52:53], v132, s[sgprSizeI]          // coord0 < size0
v_cmp_lt_u32 s[56:57], v129, s[sgprSizeJ]          // coord1 < size1
s_and_b64 s[56:57], s[52:53], s[56:57]             // in0 && in1
_v_add_lshl_u32 v168, v131, v132, 0x1              // scaleToBpe: accumulate d0 lower and *= bpe into Cin addr
v_cndmask_b32 v168, -1, v168, s[56:57]             // LDD clip if OOB. offset
/* (d1,vc1,d0,vc0)=(1,0,0,0) */
_v_add_co_u32 v129, vcc, v129, 9                   // coord1.1: coord1Vgpr += d1*sg1*VW + vc1

/* Fix for UseInitialStridesCD, emitAddressSetupCode */
s_mul_i32 s52, s[sgprStrideC1J], 9                 // scale stride
_v_add_u32 v130, v130, s52                         // ROWINC- Move cinRowPtr to next row
s_mul_i32 s52, s[sgprStrideD1J], 9                 // scale stride
_v_add_u32 v131, v131, s52                         // Move coutRowPtr to next row
v_cmp_lt_u32 s[52:53], v128, s[sgprSizeI]          // coord0 < size0
v_cmp_lt_u32 s[56:57], v129, s[sgprSizeJ]          // coord1 < size1
s_and_b64 s[56:57], s[52:53], s[56:57]             // in0 && in1
_v_add_lshl_u32 v170, v131, v128, 0x1              // scaleToBpe: accumulate d0 lower and *= bpe into Cin addr
v_cndmask_b32 v170, -1, v170, s[56:57]             // LDD clip if OOB. offset
/* (d1,vc1,d0,vc0)=(1,0,0,1) */
_v_add_co_u32 v132, vcc, v128, 1                   // coord0.1: coord0 += d0*sg0*VW + vc0
v_cmp_lt_u32 s[52:53], v132, s[sgprSizeI]          // coord0 < size0
v_cmp_lt_u32 s[56:57], v129, s[sgprSizeJ]          // coord1 < size1
s_and_b64 s[56:57], s[52:53], s[56:57]             // in0 && in1
_v_add_lshl_u32 v172, v131, v132, 0x1              // scaleToBpe: accumulate d0 lower and *= bpe into Cin addr
v_cndmask_b32 v172, -1, v172, s[56:57]             // LDD clip if OOB. offset
/* (d1,vc1,d0,vc0)=(1,1,0,0) */
_v_add_co_u32 v129, vcc, v129, 1                   // coord1.1: coord1Vgpr += d1*sg1*VW + vc1

/* Fix for UseInitialStridesCD, emitAddressSetupCode */
_v_add_u32 v130, v130, s[sgprStrideC1J]            // ROWINC- Move cinRowPtr to next row
_v_add_u32 v131, v131, s[sgprStrideD1J]            // Move coutRowPtr to next row
v_cmp_lt_u32 s[52:53], v128, s[sgprSizeI]          // coord0 < size0
v_cmp_lt_u32 s[56:57], v129, s[sgprSizeJ]          // coord1 < size1
s_and_b64 s[56:57], s[52:53], s[56:57]             // in0 && in1
_v_add_lshl_u32 v174, v131, v128, 0x1              // scaleToBpe: accumulate d0 lower and *= bpe into Cin addr
v_cndmask_b32 v174, -1, v174, s[56:57]             // LDD clip if OOB. offset
/* (d1,vc1,d0,vc0)=(1,1,0,1) */
_v_add_co_u32 v132, vcc, v128, 1                   // coord0.1: coord0 += d0*sg0*VW + vc0
v_cmp_lt_u32 s[52:53], v132, s[sgprSizeI]          // coord0 < size0
v_cmp_lt_u32 s[56:57], v129, s[sgprSizeJ]          // coord1 < size1
s_and_b64 s[56:57], s[52:53], s[56:57]             // in0 && in1
_v_add_lshl_u32 v176, v131, v132, 0x1              // scaleToBpe: accumulate d0 lower and *= bpe into Cin addr
v_cndmask_b32 v176, -1, v176, s[56:57]             // LDD clip if OOB. offset
/* (d1,vc1,d0,vc0)=(1,2,0,0) */
_v_add_co_u32 v129, vcc, v129, 1                   // coord1.1: coord1Vgpr += d1*sg1*VW + vc1

/* Fix for UseInitialStridesCD, emitAddressSetupCode */
_v_add_u32 v130, v130, s[sgprStrideC1J]            // ROWINC- Move cinRowPtr to next row
_v_add_u32 v131, v131, s[sgprStrideD1J]            // Move coutRowPtr to next row
	;; [unrolled: 18-line block ×7, first 2 shown]
v_cmp_lt_u32 s[52:53], v128, s[sgprSizeI]          // coord0 < size0
v_cmp_lt_u32 s[56:57], v129, s[sgprSizeJ]          // coord1 < size1
s_and_b64 s[56:57], s[52:53], s[56:57]             // in0 && in1
_v_add_lshl_u32 v198, v131, v128, 0x1              // scaleToBpe: accumulate d0 lower and *= bpe into Cin addr
v_cndmask_b32 v198, -1, v198, s[56:57]             // LDD clip if OOB. offset
/* (d1,vc1,d0,vc0)=(1,7,0,1) */
_v_add_co_u32 v132, vcc, v128, 1                   // coord0.1: coord0 += d0*sg0*VW + vc0
v_cmp_lt_u32 s[52:53], v132, s[sgprSizeI]          // coord0 < size0
v_cmp_lt_u32 s[56:57], v129, s[sgprSizeJ]          // coord1 < size1
s_and_b64 s[56:57], s[52:53], s[56:57]             // in0 && in1
_v_add_lshl_u32 v200, v131, v132, 0x1              // scaleToBpe: accumulate d0 lower and *= bpe into Cin addr
v_cndmask_b32 v200, -1, v200, s[56:57]             // LDD clip if OOB. offset
/* (d1,vc1,d0,vc0)=(2,0,0,0) */
_v_add_co_u32 v129, vcc, v129, 9                   // coord1.1: coord1Vgpr += d1*sg1*VW + vc1

/* Fix for UseInitialStridesCD, emitAddressSetupCode */
s_mul_i32 s52, s[sgprStrideC1J], 9                 // scale stride
_v_add_u32 v130, v130, s52                         // ROWINC- Move cinRowPtr to next row
s_mul_i32 s52, s[sgprStrideD1J], 9                 // scale stride
_v_add_u32 v131, v131, s52                         // Move coutRowPtr to next row
v_cmp_lt_u32 s[52:53], v128, s[sgprSizeI]          // coord0 < size0
v_cmp_lt_u32 s[56:57], v129, s[sgprSizeJ]          // coord1 < size1
s_and_b64 s[56:57], s[52:53], s[56:57]             // in0 && in1
_v_add_lshl_u32 v202, v131, v128, 0x1              // scaleToBpe: accumulate d0 lower and *= bpe into Cin addr
v_cndmask_b32 v202, -1, v202, s[56:57]             // LDD clip if OOB. offset
/* (d1,vc1,d0,vc0)=(2,0,0,1) */
_v_add_co_u32 v132, vcc, v128, 1                   // coord0.1: coord0 += d0*sg0*VW + vc0
v_cmp_lt_u32 s[52:53], v132, s[sgprSizeI]          // coord0 < size0
v_cmp_lt_u32 s[56:57], v129, s[sgprSizeJ]          // coord1 < size1
s_and_b64 s[56:57], s[52:53], s[56:57]             // in0 && in1
_v_add_lshl_u32 v204, v131, v132, 0x1              // scaleToBpe: accumulate d0 lower and *= bpe into Cin addr
v_cndmask_b32 v204, -1, v204, s[56:57]             // LDD clip if OOB. offset
/* (d1,vc1,d0,vc0)=(2,1,0,0) */
_v_add_co_u32 v129, vcc, v129, 1                   // coord1.1: coord1Vgpr += d1*sg1*VW + vc1

/* Fix for UseInitialStridesCD, emitAddressSetupCode */
_v_add_u32 v130, v130, s[sgprStrideC1J]            // ROWINC- Move cinRowPtr to next row
_v_add_u32 v131, v131, s[sgprStrideD1J]            // Move coutRowPtr to next row
v_cmp_lt_u32 s[52:53], v128, s[sgprSizeI]          // coord0 < size0
v_cmp_lt_u32 s[56:57], v129, s[sgprSizeJ]          // coord1 < size1
s_and_b64 s[56:57], s[52:53], s[56:57]             // in0 && in1
_v_add_lshl_u32 v206, v131, v128, 0x1              // scaleToBpe: accumulate d0 lower and *= bpe into Cin addr
v_cndmask_b32 v206, -1, v206, s[56:57]             // LDD clip if OOB. offset
/* (d1,vc1,d0,vc0)=(2,1,0,1) */
_v_add_co_u32 v132, vcc, v128, 1                   // coord0.1: coord0 += d0*sg0*VW + vc0
v_cmp_lt_u32 s[52:53], v132, s[sgprSizeI]          // coord0 < size0
v_cmp_lt_u32 s[56:57], v129, s[sgprSizeJ]          // coord1 < size1
s_and_b64 s[56:57], s[52:53], s[56:57]             // in0 && in1
_v_add_lshl_u32 v211, v131, v132, 0x1              // scaleToBpe: accumulate d0 lower and *= bpe into Cin addr
v_cndmask_b32 v211, -1, v211, s[56:57]             // LDD clip if OOB. offset
/* (d1,vc1,d0,vc0)=(2,2,0,0) */
_v_add_co_u32 v129, vcc, v129, 1                   // coord1.1: coord1Vgpr += d1*sg1*VW + vc1

/* Fix for UseInitialStridesCD, emitAddressSetupCode */
_v_add_u32 v130, v130, s[sgprStrideC1J]            // ROWINC- Move cinRowPtr to next row
_v_add_u32 v131, v131, s[sgprStrideD1J]            // Move coutRowPtr to next row
	;; [unrolled: 18-line block ×7, first 2 shown]
v_cmp_lt_u32 s[52:53], v128, s[sgprSizeI]          // coord0 < size0
v_cmp_lt_u32 s[56:57], v129, s[sgprSizeJ]          // coord1 < size1
s_and_b64 s[56:57], s[52:53], s[56:57]             // in0 && in1
_v_add_lshl_u32 v233, v131, v128, 0x1              // scaleToBpe: accumulate d0 lower and *= bpe into Cin addr
v_cndmask_b32 v233, -1, v233, s[56:57]             // LDD clip if OOB. offset
/* (d1,vc1,d0,vc0)=(2,7,0,1) */
_v_add_co_u32 v132, vcc, v128, 1                   // coord0.1: coord0 += d0*sg0*VW + vc0
v_cmp_lt_u32 s[52:53], v132, s[sgprSizeI]          // coord0 < size0
v_cmp_lt_u32 s[56:57], v129, s[sgprSizeJ]          // coord1 < size1
s_and_b64 s[56:57], s[52:53], s[56:57]             // in0 && in1
_v_add_lshl_u32 v235, v131, v132, 0x1              // scaleToBpe: accumulate d0 lower and *= bpe into Cin addr
v_cndmask_b32 v235, -1, v235, s[56:57]             // LDD clip if OOB. offset
/* (d1,vc1,d0,vc0)=(3,0,0,0) */
_v_add_co_u32 v129, vcc, v129, 9                   // coord1.1: coord1Vgpr += d1*sg1*VW + vc1

/* Fix for UseInitialStridesCD, emitAddressSetupCode */
s_mul_i32 s52, s[sgprStrideC1J], 9                 // scale stride
_v_add_u32 v130, v130, s52                         // ROWINC- Move cinRowPtr to next row
s_mul_i32 s52, s[sgprStrideD1J], 9                 // scale stride
_v_add_u32 v131, v131, s52                         // Move coutRowPtr to next row
v_cmp_lt_u32 s[52:53], v128, s[sgprSizeI]          // coord0 < size0
v_cmp_lt_u32 s[56:57], v129, s[sgprSizeJ]          // coord1 < size1
s_and_b64 s[56:57], s[52:53], s[56:57]             // in0 && in1
_v_add_lshl_u32 v237, v131, v128, 0x1              // scaleToBpe: accumulate d0 lower and *= bpe into Cin addr
v_cndmask_b32 v237, -1, v237, s[56:57]             // LDD clip if OOB. offset
/* (d1,vc1,d0,vc0)=(3,0,0,1) */
_v_add_co_u32 v132, vcc, v128, 1                   // coord0.1: coord0 += d0*sg0*VW + vc0
v_cmp_lt_u32 s[52:53], v132, s[sgprSizeI]          // coord0 < size0
v_cmp_lt_u32 s[56:57], v129, s[sgprSizeJ]          // coord1 < size1
s_and_b64 s[56:57], s[52:53], s[56:57]             // in0 && in1
_v_add_lshl_u32 v239, v131, v132, 0x1              // scaleToBpe: accumulate d0 lower and *= bpe into Cin addr
v_cndmask_b32 v239, -1, v239, s[56:57]             // LDD clip if OOB. offset
/* (d1,vc1,d0,vc0)=(3,1,0,0) */
_v_add_co_u32 v129, vcc, v129, 1                   // coord1.1: coord1Vgpr += d1*sg1*VW + vc1

/* Fix for UseInitialStridesCD, emitAddressSetupCode */
_v_add_u32 v130, v130, s[sgprStrideC1J]            // ROWINC- Move cinRowPtr to next row
_v_add_u32 v131, v131, s[sgprStrideD1J]            // Move coutRowPtr to next row
v_cmp_lt_u32 s[52:53], v128, s[sgprSizeI]          // coord0 < size0
v_cmp_lt_u32 s[56:57], v129, s[sgprSizeJ]          // coord1 < size1
s_and_b64 s[56:57], s[52:53], s[56:57]             // in0 && in1
_v_add_lshl_u32 v241, v131, v128, 0x1              // scaleToBpe: accumulate d0 lower and *= bpe into Cin addr
v_cndmask_b32 v241, -1, v241, s[56:57]             // LDD clip if OOB. offset
/* (d1,vc1,d0,vc0)=(3,1,0,1) */
_v_add_co_u32 v132, vcc, v128, 1                   // coord0.1: coord0 += d0*sg0*VW + vc0
v_cmp_lt_u32 s[52:53], v132, s[sgprSizeI]          // coord0 < size0
v_cmp_lt_u32 s[56:57], v129, s[sgprSizeJ]          // coord1 < size1
s_and_b64 s[56:57], s[52:53], s[56:57]             // in0 && in1
_v_add_lshl_u32 v243, v131, v132, 0x1              // scaleToBpe: accumulate d0 lower and *= bpe into Cin addr
v_cndmask_b32 v243, -1, v243, s[56:57]             // LDD clip if OOB. offset
/* (d1,vc1,d0,vc0)=(3,2,0,0) */
_v_add_co_u32 v129, vcc, v129, 1                   // coord1.1: coord1Vgpr += d1*sg1*VW + vc1

/* Fix for UseInitialStridesCD, emitAddressSetupCode */
_v_add_u32 v130, v130, s[sgprStrideC1J]            // ROWINC- Move cinRowPtr to next row
_v_add_u32 v131, v131, s[sgprStrideD1J]            // Move coutRowPtr to next row
	;; [unrolled: 18-line block ×3, first 2 shown]
v_cmp_lt_u32 s[52:53], v128, s[sgprSizeI]          // coord0 < size0
v_cmp_lt_u32 s[56:57], v129, s[sgprSizeJ]          // coord1 < size1
s_and_b64 s[56:57], s[52:53], s[56:57]             // in0 && in1
_v_add_lshl_u32 v249, v131, v128, 0x1              // scaleToBpe: accumulate d0 lower and *= bpe into Cin addr
v_cndmask_b32 v249, -1, v249, s[56:57]             // LDD clip if OOB. offset
/* (d1,vc1,d0,vc0)=(3,3,0,1) */
_v_add_co_u32 v132, vcc, v128, 1                   // coord0.1: coord0 += d0*sg0*VW + vc0
v_cmp_lt_u32 s[52:53], v132, s[sgprSizeI]          // coord0 < size0
v_cmp_lt_u32 s[56:57], v129, s[sgprSizeJ]          // coord1 < size1
s_and_b64 s[56:57], s[52:53], s[56:57]             // in0 && in1
_v_add_lshl_u32 v251, v131, v132, 0x1              // scaleToBpe: accumulate d0 lower and *= bpe into Cin addr
v_cndmask_b32 v251, -1, v251, s[56:57]             // LDD clip if OOB. offset

/* rC *= alpha batchElements=[(0, 0, 0, 0), (0, 0, 0, 1), (0, 0, 1, 0), (0, 0, 1, 1), (0, 0, 2, 0), (0, 0, 2, 1), (0, 0, 3, 0), (0, 0, 3, 1), (0, 0, 4, 0), (0, 0, 4, 1), (0, 0, 5, 0), (0, 0, 5, 1), (0, 0, 6, 0), (0, 0, 6, 1), (0, 0, 7, 0), (0, 0, 7, 1), (1, 0, 0, 0), (1, 0, 0, 1), (1, 0, 1, 0), (1, 0, 1, 1), (1, 0, 2, 0), (1, 0, 2, 1), (1, 0, 3, 0), (1, 0, 3, 1), (1, 0, 4, 0), (1, 0, 4, 1), (1, 0, 5, 0), (1, 0, 5, 1), (1, 0, 6, 0), (1, 0, 6, 1), (1, 0, 7, 0), (1, 0, 7, 1), (2, 0, 0, 0), (2, 0, 0, 1), (2, 0, 1, 0), (2, 0, 1, 1), (2, 0, 2, 0), (2, 0, 2, 1), (2, 0, 3, 0), (2, 0, 3, 1), (2, 0, 4, 0), (2, 0, 4, 1), (2, 0, 5, 0), (2, 0, 5, 1), (2, 0, 6, 0), (2, 0, 6, 1), (2, 0, 7, 0), (2, 0, 7, 1), (3, 0, 0, 0), (3, 0, 0, 1), (3, 0, 1, 0), (3, 0, 1, 1), (3, 0, 2, 0), (3, 0, 2, 1), (3, 0, 3, 0), (3, 0, 3, 1)] */
v_mul_f32 v[vgprValuC+139], s[sgprAlpha], v[vgprValuC+0] // Multiply MI out reg with alpha
v_mul_f32 v[vgprValuC+141], s[sgprAlpha], v[vgprValuC+16] // Multiply MI out reg with alpha
	;; [unrolled: 1-line block ×56, first 2 shown]

/* apply mask, calc new C and issue writes */
v_mov_b32 v135, 0xffff0000                         // mask for pack two bfloat16 element to 32bit
v_mov_b32 v136, 0x7fff0000                         // fp32 Nan
v_mov_b32 v137, 0x7fff                             // rounding bias for bfloat16
v_cmp_u_f32 s[52:53], v[vgprValuC+139], v[vgprValuC+139] // check Nan
v_bfe_u32 v134, v[vgprValuC+139], 16, 1            // Non-Nan case: store lsb of bf16
v_add3_u32 v134, v[vgprValuC+139], v134, v137      // Non-Nan case: add lsb and the increment for rounding
v_cndmask_b32 v[vgprValuC+139], v134, v136, s[52:53] // 
v_lshrrev_b32 v[vgprValuC+139], 16, v[vgprValuC+139] // convert C to bf16
_buffer_store_b16 v139, v138, s[sgprSrdD:sgprSrdD+3], 0, offen, offset:0,  glc slc // store D
v_cmp_u_f32 s[52:53], v[vgprValuC+141], v[vgprValuC+141] // check Nan
v_bfe_u32 v134, v[vgprValuC+141], 16, 1            // Non-Nan case: store lsb of bf16
v_add3_u32 v134, v[vgprValuC+141], v134, v137      // Non-Nan case: add lsb and the increment for rounding
v_cndmask_b32 v[vgprValuC+141], v134, v136, s[52:53] // 
v_lshrrev_b32 v[vgprValuC+141], 16, v[vgprValuC+141] // convert C to bf16
_buffer_store_b16 v141, v140, s[sgprSrdD:sgprSrdD+3], 0, offen, offset:0,  glc slc // store D
v_cmp_u_f32 s[52:53], v[vgprValuC+143], v[vgprValuC+143] // check Nan
v_bfe_u32 v134, v[vgprValuC+143], 16, 1            // Non-Nan case: store lsb of bf16
v_add3_u32 v134, v[vgprValuC+143], v134, v137      // Non-Nan case: add lsb and the increment for rounding
v_cndmask_b32 v[vgprValuC+143], v134, v136, s[52:53] // 
v_lshrrev_b32 v[vgprValuC+143], 16, v[vgprValuC+143] // convert C to bf16
_buffer_store_b16 v143, v142, s[sgprSrdD:sgprSrdD+3], 0, offen, offset:0,  glc slc // store D
v_cmp_u_f32 s[52:53], v[vgprValuC+145], v[vgprValuC+145] // check Nan
v_bfe_u32 v134, v[vgprValuC+145], 16, 1            // Non-Nan case: store lsb of bf16
v_add3_u32 v134, v[vgprValuC+145], v134, v137      // Non-Nan case: add lsb and the increment for rounding
v_cndmask_b32 v[vgprValuC+145], v134, v136, s[52:53] // 
v_lshrrev_b32 v[vgprValuC+145], 16, v[vgprValuC+145] // convert C to bf16
_buffer_store_b16 v145, v144, s[sgprSrdD:sgprSrdD+3], 0, offen, offset:0,  glc slc // store D
v_cmp_u_f32 s[52:53], v[vgprValuC+147], v[vgprValuC+147] // check Nan
v_bfe_u32 v134, v[vgprValuC+147], 16, 1            // Non-Nan case: store lsb of bf16
v_add3_u32 v134, v[vgprValuC+147], v134, v137      // Non-Nan case: add lsb and the increment for rounding
v_cndmask_b32 v[vgprValuC+147], v134, v136, s[52:53] // 
v_lshrrev_b32 v[vgprValuC+147], 16, v[vgprValuC+147] // convert C to bf16
_buffer_store_b16 v147, v146, s[sgprSrdD:sgprSrdD+3], 0, offen, offset:0,  glc slc // store D
v_cmp_u_f32 s[52:53], v[vgprValuC+149], v[vgprValuC+149] // check Nan
v_bfe_u32 v134, v[vgprValuC+149], 16, 1            // Non-Nan case: store lsb of bf16
v_add3_u32 v134, v[vgprValuC+149], v134, v137      // Non-Nan case: add lsb and the increment for rounding
v_cndmask_b32 v[vgprValuC+149], v134, v136, s[52:53] // 
v_lshrrev_b32 v[vgprValuC+149], 16, v[vgprValuC+149] // convert C to bf16
_buffer_store_b16 v149, v148, s[sgprSrdD:sgprSrdD+3], 0, offen, offset:0,  glc slc // store D
v_cmp_u_f32 s[52:53], v[vgprValuC+151], v[vgprValuC+151] // check Nan
v_bfe_u32 v134, v[vgprValuC+151], 16, 1            // Non-Nan case: store lsb of bf16
v_add3_u32 v134, v[vgprValuC+151], v134, v137      // Non-Nan case: add lsb and the increment for rounding
v_cndmask_b32 v[vgprValuC+151], v134, v136, s[52:53] // 
v_lshrrev_b32 v[vgprValuC+151], 16, v[vgprValuC+151] // convert C to bf16
_buffer_store_b16 v151, v150, s[sgprSrdD:sgprSrdD+3], 0, offen, offset:0,  glc slc // store D
v_cmp_u_f32 s[52:53], v[vgprValuC+153], v[vgprValuC+153] // check Nan
v_bfe_u32 v134, v[vgprValuC+153], 16, 1            // Non-Nan case: store lsb of bf16
v_add3_u32 v134, v[vgprValuC+153], v134, v137      // Non-Nan case: add lsb and the increment for rounding
v_cndmask_b32 v[vgprValuC+153], v134, v136, s[52:53] // 
v_lshrrev_b32 v[vgprValuC+153], 16, v[vgprValuC+153] // convert C to bf16
_buffer_store_b16 v153, v152, s[sgprSrdD:sgprSrdD+3], 0, offen, offset:0,  glc slc // store D
v_cmp_u_f32 s[52:53], v[vgprValuC+155], v[vgprValuC+155] // check Nan
v_bfe_u32 v134, v[vgprValuC+155], 16, 1            // Non-Nan case: store lsb of bf16
v_add3_u32 v134, v[vgprValuC+155], v134, v137      // Non-Nan case: add lsb and the increment for rounding
v_cndmask_b32 v[vgprValuC+155], v134, v136, s[52:53] // 
v_lshrrev_b32 v[vgprValuC+155], 16, v[vgprValuC+155] // convert C to bf16
_buffer_store_b16 v155, v154, s[sgprSrdD:sgprSrdD+3], 0, offen, offset:0,  glc slc // store D
v_cmp_u_f32 s[52:53], v[vgprValuC+157], v[vgprValuC+157] // check Nan
v_bfe_u32 v134, v[vgprValuC+157], 16, 1            // Non-Nan case: store lsb of bf16
v_add3_u32 v134, v[vgprValuC+157], v134, v137      // Non-Nan case: add lsb and the increment for rounding
v_cndmask_b32 v[vgprValuC+157], v134, v136, s[52:53] // 
v_lshrrev_b32 v[vgprValuC+157], 16, v[vgprValuC+157] // convert C to bf16
_buffer_store_b16 v157, v156, s[sgprSrdD:sgprSrdD+3], 0, offen, offset:0,  glc slc // store D
v_cmp_u_f32 s[52:53], v[vgprValuC+159], v[vgprValuC+159] // check Nan
v_bfe_u32 v134, v[vgprValuC+159], 16, 1            // Non-Nan case: store lsb of bf16
v_add3_u32 v134, v[vgprValuC+159], v134, v137      // Non-Nan case: add lsb and the increment for rounding
v_cndmask_b32 v[vgprValuC+159], v134, v136, s[52:53] // 
v_lshrrev_b32 v[vgprValuC+159], 16, v[vgprValuC+159] // convert C to bf16
_buffer_store_b16 v159, v158, s[sgprSrdD:sgprSrdD+3], 0, offen, offset:0,  glc slc // store D
v_cmp_u_f32 s[52:53], v[vgprValuC+161], v[vgprValuC+161] // check Nan
v_bfe_u32 v134, v[vgprValuC+161], 16, 1            // Non-Nan case: store lsb of bf16
v_add3_u32 v134, v[vgprValuC+161], v134, v137      // Non-Nan case: add lsb and the increment for rounding
v_cndmask_b32 v[vgprValuC+161], v134, v136, s[52:53] // 
v_lshrrev_b32 v[vgprValuC+161], 16, v[vgprValuC+161] // convert C to bf16
_buffer_store_b16 v161, v160, s[sgprSrdD:sgprSrdD+3], 0, offen, offset:0,  glc slc // store D
v_cmp_u_f32 s[52:53], v[vgprValuC+163], v[vgprValuC+163] // check Nan
v_bfe_u32 v134, v[vgprValuC+163], 16, 1            // Non-Nan case: store lsb of bf16
v_add3_u32 v134, v[vgprValuC+163], v134, v137      // Non-Nan case: add lsb and the increment for rounding
v_cndmask_b32 v[vgprValuC+163], v134, v136, s[52:53] // 
v_lshrrev_b32 v[vgprValuC+163], 16, v[vgprValuC+163] // convert C to bf16
_buffer_store_b16 v163, v162, s[sgprSrdD:sgprSrdD+3], 0, offen, offset:0,  glc slc // store D
v_cmp_u_f32 s[52:53], v[vgprValuC+165], v[vgprValuC+165] // check Nan
v_bfe_u32 v134, v[vgprValuC+165], 16, 1            // Non-Nan case: store lsb of bf16
v_add3_u32 v134, v[vgprValuC+165], v134, v137      // Non-Nan case: add lsb and the increment for rounding
v_cndmask_b32 v[vgprValuC+165], v134, v136, s[52:53] // 
v_lshrrev_b32 v[vgprValuC+165], 16, v[vgprValuC+165] // convert C to bf16
_buffer_store_b16 v165, v164, s[sgprSrdD:sgprSrdD+3], 0, offen, offset:0,  glc slc // store D
v_cmp_u_f32 s[52:53], v[vgprValuC+167], v[vgprValuC+167] // check Nan
v_bfe_u32 v134, v[vgprValuC+167], 16, 1            // Non-Nan case: store lsb of bf16
v_add3_u32 v134, v[vgprValuC+167], v134, v137      // Non-Nan case: add lsb and the increment for rounding
v_cndmask_b32 v[vgprValuC+167], v134, v136, s[52:53] // 
v_lshrrev_b32 v[vgprValuC+167], 16, v[vgprValuC+167] // convert C to bf16
_buffer_store_b16 v167, v166, s[sgprSrdD:sgprSrdD+3], 0, offen, offset:0,  glc slc // store D
v_cmp_u_f32 s[52:53], v[vgprValuC+169], v[vgprValuC+169] // check Nan
v_bfe_u32 v134, v[vgprValuC+169], 16, 1            // Non-Nan case: store lsb of bf16
v_add3_u32 v134, v[vgprValuC+169], v134, v137      // Non-Nan case: add lsb and the increment for rounding
v_cndmask_b32 v[vgprValuC+169], v134, v136, s[52:53] // 
v_lshrrev_b32 v[vgprValuC+169], 16, v[vgprValuC+169] // convert C to bf16
_buffer_store_b16 v169, v168, s[sgprSrdD:sgprSrdD+3], 0, offen, offset:0,  glc slc // store D
v_cmp_u_f32 s[52:53], v[vgprValuC+171], v[vgprValuC+171] // check Nan
v_bfe_u32 v134, v[vgprValuC+171], 16, 1            // Non-Nan case: store lsb of bf16
v_add3_u32 v134, v[vgprValuC+171], v134, v137      // Non-Nan case: add lsb and the increment for rounding
v_cndmask_b32 v[vgprValuC+171], v134, v136, s[52:53] // 
v_lshrrev_b32 v[vgprValuC+171], 16, v[vgprValuC+171] // convert C to bf16
_buffer_store_b16 v171, v170, s[sgprSrdD:sgprSrdD+3], 0, offen, offset:0,  glc slc // store D
v_cmp_u_f32 s[52:53], v[vgprValuC+173], v[vgprValuC+173] // check Nan
v_bfe_u32 v134, v[vgprValuC+173], 16, 1            // Non-Nan case: store lsb of bf16
v_add3_u32 v134, v[vgprValuC+173], v134, v137      // Non-Nan case: add lsb and the increment for rounding
v_cndmask_b32 v[vgprValuC+173], v134, v136, s[52:53] // 
v_lshrrev_b32 v[vgprValuC+173], 16, v[vgprValuC+173] // convert C to bf16
_buffer_store_b16 v173, v172, s[sgprSrdD:sgprSrdD+3], 0, offen, offset:0,  glc slc // store D
v_cmp_u_f32 s[52:53], v[vgprValuC+175], v[vgprValuC+175] // check Nan
v_bfe_u32 v134, v[vgprValuC+175], 16, 1            // Non-Nan case: store lsb of bf16
v_add3_u32 v134, v[vgprValuC+175], v134, v137      // Non-Nan case: add lsb and the increment for rounding
v_cndmask_b32 v[vgprValuC+175], v134, v136, s[52:53] // 
v_lshrrev_b32 v[vgprValuC+175], 16, v[vgprValuC+175] // convert C to bf16
_buffer_store_b16 v175, v174, s[sgprSrdD:sgprSrdD+3], 0, offen, offset:0,  glc slc // store D
v_cmp_u_f32 s[52:53], v[vgprValuC+177], v[vgprValuC+177] // check Nan
v_bfe_u32 v134, v[vgprValuC+177], 16, 1            // Non-Nan case: store lsb of bf16
v_add3_u32 v134, v[vgprValuC+177], v134, v137      // Non-Nan case: add lsb and the increment for rounding
v_cndmask_b32 v[vgprValuC+177], v134, v136, s[52:53] // 
v_lshrrev_b32 v[vgprValuC+177], 16, v[vgprValuC+177] // convert C to bf16
_buffer_store_b16 v177, v176, s[sgprSrdD:sgprSrdD+3], 0, offen, offset:0,  glc slc // store D
v_cmp_u_f32 s[52:53], v[vgprValuC+179], v[vgprValuC+179] // check Nan
v_bfe_u32 v134, v[vgprValuC+179], 16, 1            // Non-Nan case: store lsb of bf16
v_add3_u32 v134, v[vgprValuC+179], v134, v137      // Non-Nan case: add lsb and the increment for rounding
v_cndmask_b32 v[vgprValuC+179], v134, v136, s[52:53] // 
v_lshrrev_b32 v[vgprValuC+179], 16, v[vgprValuC+179] // convert C to bf16
_buffer_store_b16 v179, v178, s[sgprSrdD:sgprSrdD+3], 0, offen, offset:0,  glc slc // store D
v_cmp_u_f32 s[52:53], v[vgprValuC+181], v[vgprValuC+181] // check Nan
v_bfe_u32 v134, v[vgprValuC+181], 16, 1            // Non-Nan case: store lsb of bf16
v_add3_u32 v134, v[vgprValuC+181], v134, v137      // Non-Nan case: add lsb and the increment for rounding
v_cndmask_b32 v[vgprValuC+181], v134, v136, s[52:53] // 
v_lshrrev_b32 v[vgprValuC+181], 16, v[vgprValuC+181] // convert C to bf16
_buffer_store_b16 v181, v180, s[sgprSrdD:sgprSrdD+3], 0, offen, offset:0,  glc slc // store D
v_cmp_u_f32 s[52:53], v[vgprValuC+183], v[vgprValuC+183] // check Nan
v_bfe_u32 v134, v[vgprValuC+183], 16, 1            // Non-Nan case: store lsb of bf16
v_add3_u32 v134, v[vgprValuC+183], v134, v137      // Non-Nan case: add lsb and the increment for rounding
v_cndmask_b32 v[vgprValuC+183], v134, v136, s[52:53] // 
v_lshrrev_b32 v[vgprValuC+183], 16, v[vgprValuC+183] // convert C to bf16
_buffer_store_b16 v183, v182, s[sgprSrdD:sgprSrdD+3], 0, offen, offset:0,  glc slc // store D
v_cmp_u_f32 s[52:53], v[vgprValuC+185], v[vgprValuC+185] // check Nan
v_bfe_u32 v134, v[vgprValuC+185], 16, 1            // Non-Nan case: store lsb of bf16
v_add3_u32 v134, v[vgprValuC+185], v134, v137      // Non-Nan case: add lsb and the increment for rounding
v_cndmask_b32 v[vgprValuC+185], v134, v136, s[52:53] // 
v_lshrrev_b32 v[vgprValuC+185], 16, v[vgprValuC+185] // convert C to bf16
_buffer_store_b16 v185, v184, s[sgprSrdD:sgprSrdD+3], 0, offen, offset:0,  glc slc // store D
v_cmp_u_f32 s[52:53], v[vgprValuC+187], v[vgprValuC+187] // check Nan
v_bfe_u32 v134, v[vgprValuC+187], 16, 1            // Non-Nan case: store lsb of bf16
v_add3_u32 v134, v[vgprValuC+187], v134, v137      // Non-Nan case: add lsb and the increment for rounding
v_cndmask_b32 v[vgprValuC+187], v134, v136, s[52:53] // 
v_lshrrev_b32 v[vgprValuC+187], 16, v[vgprValuC+187] // convert C to bf16
_buffer_store_b16 v187, v186, s[sgprSrdD:sgprSrdD+3], 0, offen, offset:0,  glc slc // store D
v_cmp_u_f32 s[52:53], v[vgprValuC+189], v[vgprValuC+189] // check Nan
v_bfe_u32 v134, v[vgprValuC+189], 16, 1            // Non-Nan case: store lsb of bf16
v_add3_u32 v134, v[vgprValuC+189], v134, v137      // Non-Nan case: add lsb and the increment for rounding
v_cndmask_b32 v[vgprValuC+189], v134, v136, s[52:53] // 
v_lshrrev_b32 v[vgprValuC+189], 16, v[vgprValuC+189] // convert C to bf16
_buffer_store_b16 v189, v188, s[sgprSrdD:sgprSrdD+3], 0, offen, offset:0,  glc slc // store D
v_cmp_u_f32 s[52:53], v[vgprValuC+191], v[vgprValuC+191] // check Nan
v_bfe_u32 v134, v[vgprValuC+191], 16, 1            // Non-Nan case: store lsb of bf16
v_add3_u32 v134, v[vgprValuC+191], v134, v137      // Non-Nan case: add lsb and the increment for rounding
v_cndmask_b32 v[vgprValuC+191], v134, v136, s[52:53] // 
v_lshrrev_b32 v[vgprValuC+191], 16, v[vgprValuC+191] // convert C to bf16
_buffer_store_b16 v191, v190, s[sgprSrdD:sgprSrdD+3], 0, offen, offset:0,  glc slc // store D
v_cmp_u_f32 s[52:53], v[vgprValuC+193], v[vgprValuC+193] // check Nan
v_bfe_u32 v134, v[vgprValuC+193], 16, 1            // Non-Nan case: store lsb of bf16
v_add3_u32 v134, v[vgprValuC+193], v134, v137      // Non-Nan case: add lsb and the increment for rounding
v_cndmask_b32 v[vgprValuC+193], v134, v136, s[52:53] // 
v_lshrrev_b32 v[vgprValuC+193], 16, v[vgprValuC+193] // convert C to bf16
_buffer_store_b16 v193, v192, s[sgprSrdD:sgprSrdD+3], 0, offen, offset:0,  glc slc // store D
v_cmp_u_f32 s[52:53], v[vgprValuC+195], v[vgprValuC+195] // check Nan
v_bfe_u32 v134, v[vgprValuC+195], 16, 1            // Non-Nan case: store lsb of bf16
v_add3_u32 v134, v[vgprValuC+195], v134, v137      // Non-Nan case: add lsb and the increment for rounding
v_cndmask_b32 v[vgprValuC+195], v134, v136, s[52:53] // 
v_lshrrev_b32 v[vgprValuC+195], 16, v[vgprValuC+195] // convert C to bf16
_buffer_store_b16 v195, v194, s[sgprSrdD:sgprSrdD+3], 0, offen, offset:0,  glc slc // store D
v_cmp_u_f32 s[52:53], v[vgprValuC+197], v[vgprValuC+197] // check Nan
v_bfe_u32 v134, v[vgprValuC+197], 16, 1            // Non-Nan case: store lsb of bf16
v_add3_u32 v134, v[vgprValuC+197], v134, v137      // Non-Nan case: add lsb and the increment for rounding
v_cndmask_b32 v[vgprValuC+197], v134, v136, s[52:53] // 
v_lshrrev_b32 v[vgprValuC+197], 16, v[vgprValuC+197] // convert C to bf16
_buffer_store_b16 v197, v196, s[sgprSrdD:sgprSrdD+3], 0, offen, offset:0,  glc slc // store D
v_cmp_u_f32 s[52:53], v[vgprValuC+199], v[vgprValuC+199] // check Nan
v_bfe_u32 v134, v[vgprValuC+199], 16, 1            // Non-Nan case: store lsb of bf16
v_add3_u32 v134, v[vgprValuC+199], v134, v137      // Non-Nan case: add lsb and the increment for rounding
v_cndmask_b32 v[vgprValuC+199], v134, v136, s[52:53] // 
v_lshrrev_b32 v[vgprValuC+199], 16, v[vgprValuC+199] // convert C to bf16
_buffer_store_b16 v199, v198, s[sgprSrdD:sgprSrdD+3], 0, offen, offset:0,  glc slc // store D
v_cmp_u_f32 s[52:53], v[vgprValuC+201], v[vgprValuC+201] // check Nan
v_bfe_u32 v134, v[vgprValuC+201], 16, 1            // Non-Nan case: store lsb of bf16
v_add3_u32 v134, v[vgprValuC+201], v134, v137      // Non-Nan case: add lsb and the increment for rounding
v_cndmask_b32 v[vgprValuC+201], v134, v136, s[52:53] // 
v_lshrrev_b32 v[vgprValuC+201], 16, v[vgprValuC+201] // convert C to bf16
_buffer_store_b16 v201, v200, s[sgprSrdD:sgprSrdD+3], 0, offen, offset:0,  glc slc // store D
v_cmp_u_f32 s[52:53], v[vgprValuC+203], v[vgprValuC+203] // check Nan
v_bfe_u32 v134, v[vgprValuC+203], 16, 1            // Non-Nan case: store lsb of bf16
v_add3_u32 v134, v[vgprValuC+203], v134, v137      // Non-Nan case: add lsb and the increment for rounding
v_cndmask_b32 v[vgprValuC+203], v134, v136, s[52:53] // 
v_lshrrev_b32 v[vgprValuC+203], 16, v[vgprValuC+203] // convert C to bf16
_buffer_store_b16 v203, v202, s[sgprSrdD:sgprSrdD+3], 0, offen, offset:0,  glc slc // store D
v_cmp_u_f32 s[52:53], v[vgprValuC+205], v[vgprValuC+205] // check Nan
v_bfe_u32 v134, v[vgprValuC+205], 16, 1            // Non-Nan case: store lsb of bf16
v_add3_u32 v134, v[vgprValuC+205], v134, v137      // Non-Nan case: add lsb and the increment for rounding
v_cndmask_b32 v[vgprValuC+205], v134, v136, s[52:53] // 
v_lshrrev_b32 v[vgprValuC+205], 16, v[vgprValuC+205] // convert C to bf16
_buffer_store_b16 v205, v204, s[sgprSrdD:sgprSrdD+3], 0, offen, offset:0,  glc slc // store D
v_cmp_u_f32 s[52:53], v[vgprValuC+207], v[vgprValuC+207] // check Nan
v_bfe_u32 v134, v[vgprValuC+207], 16, 1            // Non-Nan case: store lsb of bf16
v_add3_u32 v134, v[vgprValuC+207], v134, v137      // Non-Nan case: add lsb and the increment for rounding
v_cndmask_b32 v[vgprValuC+207], v134, v136, s[52:53] // 
v_lshrrev_b32 v[vgprValuC+207], 16, v[vgprValuC+207] // convert C to bf16
_buffer_store_b16 v207, v206, s[sgprSrdD:sgprSrdD+3], 0, offen, offset:0,  glc slc // store D
v_cmp_u_f32 s[52:53], v[vgprValuC+212], v[vgprValuC+212] // check Nan
v_bfe_u32 v134, v[vgprValuC+212], 16, 1            // Non-Nan case: store lsb of bf16
v_add3_u32 v134, v[vgprValuC+212], v134, v137      // Non-Nan case: add lsb and the increment for rounding
v_cndmask_b32 v[vgprValuC+212], v134, v136, s[52:53] // 
v_lshrrev_b32 v[vgprValuC+212], 16, v[vgprValuC+212] // convert C to bf16
_buffer_store_b16 v212, v211, s[sgprSrdD:sgprSrdD+3], 0, offen, offset:0,  glc slc // store D
v_cmp_u_f32 s[52:53], v[vgprValuC+214], v[vgprValuC+214] // check Nan
v_bfe_u32 v134, v[vgprValuC+214], 16, 1            // Non-Nan case: store lsb of bf16
v_add3_u32 v134, v[vgprValuC+214], v134, v137      // Non-Nan case: add lsb and the increment for rounding
v_cndmask_b32 v[vgprValuC+214], v134, v136, s[52:53] // 
v_lshrrev_b32 v[vgprValuC+214], 16, v[vgprValuC+214] // convert C to bf16
_buffer_store_b16 v214, v213, s[sgprSrdD:sgprSrdD+3], 0, offen, offset:0,  glc slc // store D
v_cmp_u_f32 s[52:53], v[vgprValuC+216], v[vgprValuC+216] // check Nan
v_bfe_u32 v134, v[vgprValuC+216], 16, 1            // Non-Nan case: store lsb of bf16
v_add3_u32 v134, v[vgprValuC+216], v134, v137      // Non-Nan case: add lsb and the increment for rounding
v_cndmask_b32 v[vgprValuC+216], v134, v136, s[52:53] // 
v_lshrrev_b32 v[vgprValuC+216], 16, v[vgprValuC+216] // convert C to bf16
_buffer_store_b16 v216, v215, s[sgprSrdD:sgprSrdD+3], 0, offen, offset:0,  glc slc // store D
v_cmp_u_f32 s[52:53], v[vgprValuC+218], v[vgprValuC+218] // check Nan
v_bfe_u32 v134, v[vgprValuC+218], 16, 1            // Non-Nan case: store lsb of bf16
v_add3_u32 v134, v[vgprValuC+218], v134, v137      // Non-Nan case: add lsb and the increment for rounding
v_cndmask_b32 v[vgprValuC+218], v134, v136, s[52:53] // 
v_lshrrev_b32 v[vgprValuC+218], 16, v[vgprValuC+218] // convert C to bf16
_buffer_store_b16 v218, v217, s[sgprSrdD:sgprSrdD+3], 0, offen, offset:0,  glc slc // store D
v_cmp_u_f32 s[52:53], v[vgprValuC+220], v[vgprValuC+220] // check Nan
v_bfe_u32 v134, v[vgprValuC+220], 16, 1            // Non-Nan case: store lsb of bf16
v_add3_u32 v134, v[vgprValuC+220], v134, v137      // Non-Nan case: add lsb and the increment for rounding
v_cndmask_b32 v[vgprValuC+220], v134, v136, s[52:53] // 
v_lshrrev_b32 v[vgprValuC+220], 16, v[vgprValuC+220] // convert C to bf16
_buffer_store_b16 v220, v219, s[sgprSrdD:sgprSrdD+3], 0, offen, offset:0,  glc slc // store D
v_cmp_u_f32 s[52:53], v[vgprValuC+222], v[vgprValuC+222] // check Nan
v_bfe_u32 v134, v[vgprValuC+222], 16, 1            // Non-Nan case: store lsb of bf16
v_add3_u32 v134, v[vgprValuC+222], v134, v137      // Non-Nan case: add lsb and the increment for rounding
v_cndmask_b32 v[vgprValuC+222], v134, v136, s[52:53] // 
v_lshrrev_b32 v[vgprValuC+222], 16, v[vgprValuC+222] // convert C to bf16
_buffer_store_b16 v222, v221, s[sgprSrdD:sgprSrdD+3], 0, offen, offset:0,  glc slc // store D
v_cmp_u_f32 s[52:53], v[vgprValuC+224], v[vgprValuC+224] // check Nan
v_bfe_u32 v134, v[vgprValuC+224], 16, 1            // Non-Nan case: store lsb of bf16
v_add3_u32 v134, v[vgprValuC+224], v134, v137      // Non-Nan case: add lsb and the increment for rounding
v_cndmask_b32 v[vgprValuC+224], v134, v136, s[52:53] // 
v_lshrrev_b32 v[vgprValuC+224], 16, v[vgprValuC+224] // convert C to bf16
_buffer_store_b16 v224, v223, s[sgprSrdD:sgprSrdD+3], 0, offen, offset:0,  glc slc // store D
v_cmp_u_f32 s[52:53], v[vgprValuC+226], v[vgprValuC+226] // check Nan
v_bfe_u32 v134, v[vgprValuC+226], 16, 1            // Non-Nan case: store lsb of bf16
v_add3_u32 v134, v[vgprValuC+226], v134, v137      // Non-Nan case: add lsb and the increment for rounding
v_cndmask_b32 v[vgprValuC+226], v134, v136, s[52:53] // 
v_lshrrev_b32 v[vgprValuC+226], 16, v[vgprValuC+226] // convert C to bf16
_buffer_store_b16 v226, v225, s[sgprSrdD:sgprSrdD+3], 0, offen, offset:0,  glc slc // store D
v_cmp_u_f32 s[52:53], v[vgprValuC+228], v[vgprValuC+228] // check Nan
v_bfe_u32 v134, v[vgprValuC+228], 16, 1            // Non-Nan case: store lsb of bf16
v_add3_u32 v134, v[vgprValuC+228], v134, v137      // Non-Nan case: add lsb and the increment for rounding
v_cndmask_b32 v[vgprValuC+228], v134, v136, s[52:53] // 
v_lshrrev_b32 v[vgprValuC+228], 16, v[vgprValuC+228] // convert C to bf16
_buffer_store_b16 v228, v227, s[sgprSrdD:sgprSrdD+3], 0, offen, offset:0,  glc slc // store D
v_cmp_u_f32 s[52:53], v[vgprValuC+230], v[vgprValuC+230] // check Nan
v_bfe_u32 v134, v[vgprValuC+230], 16, 1            // Non-Nan case: store lsb of bf16
v_add3_u32 v134, v[vgprValuC+230], v134, v137      // Non-Nan case: add lsb and the increment for rounding
v_cndmask_b32 v[vgprValuC+230], v134, v136, s[52:53] // 
v_lshrrev_b32 v[vgprValuC+230], 16, v[vgprValuC+230] // convert C to bf16
_buffer_store_b16 v230, v229, s[sgprSrdD:sgprSrdD+3], 0, offen, offset:0,  glc slc // store D
v_cmp_u_f32 s[52:53], v[vgprValuC+232], v[vgprValuC+232] // check Nan
v_bfe_u32 v134, v[vgprValuC+232], 16, 1            // Non-Nan case: store lsb of bf16
v_add3_u32 v134, v[vgprValuC+232], v134, v137      // Non-Nan case: add lsb and the increment for rounding
v_cndmask_b32 v[vgprValuC+232], v134, v136, s[52:53] // 
v_lshrrev_b32 v[vgprValuC+232], 16, v[vgprValuC+232] // convert C to bf16
_buffer_store_b16 v232, v231, s[sgprSrdD:sgprSrdD+3], 0, offen, offset:0,  glc slc // store D
v_cmp_u_f32 s[52:53], v[vgprValuC+234], v[vgprValuC+234] // check Nan
v_bfe_u32 v134, v[vgprValuC+234], 16, 1            // Non-Nan case: store lsb of bf16
v_add3_u32 v134, v[vgprValuC+234], v134, v137      // Non-Nan case: add lsb and the increment for rounding
v_cndmask_b32 v[vgprValuC+234], v134, v136, s[52:53] // 
v_lshrrev_b32 v[vgprValuC+234], 16, v[vgprValuC+234] // convert C to bf16
_buffer_store_b16 v234, v233, s[sgprSrdD:sgprSrdD+3], 0, offen, offset:0,  glc slc // store D
v_cmp_u_f32 s[52:53], v[vgprValuC+236], v[vgprValuC+236] // check Nan
v_bfe_u32 v134, v[vgprValuC+236], 16, 1            // Non-Nan case: store lsb of bf16
v_add3_u32 v134, v[vgprValuC+236], v134, v137      // Non-Nan case: add lsb and the increment for rounding
v_cndmask_b32 v[vgprValuC+236], v134, v136, s[52:53] // 
v_lshrrev_b32 v[vgprValuC+236], 16, v[vgprValuC+236] // convert C to bf16
_buffer_store_b16 v236, v235, s[sgprSrdD:sgprSrdD+3], 0, offen, offset:0,  glc slc // store D
v_cmp_u_f32 s[52:53], v[vgprValuC+238], v[vgprValuC+238] // check Nan
v_bfe_u32 v134, v[vgprValuC+238], 16, 1            // Non-Nan case: store lsb of bf16
v_add3_u32 v134, v[vgprValuC+238], v134, v137      // Non-Nan case: add lsb and the increment for rounding
v_cndmask_b32 v[vgprValuC+238], v134, v136, s[52:53] // 
v_lshrrev_b32 v[vgprValuC+238], 16, v[vgprValuC+238] // convert C to bf16
_buffer_store_b16 v238, v237, s[sgprSrdD:sgprSrdD+3], 0, offen, offset:0,  glc slc // store D
v_cmp_u_f32 s[52:53], v[vgprValuC+240], v[vgprValuC+240] // check Nan
v_bfe_u32 v134, v[vgprValuC+240], 16, 1            // Non-Nan case: store lsb of bf16
v_add3_u32 v134, v[vgprValuC+240], v134, v137      // Non-Nan case: add lsb and the increment for rounding
v_cndmask_b32 v[vgprValuC+240], v134, v136, s[52:53] // 
v_lshrrev_b32 v[vgprValuC+240], 16, v[vgprValuC+240] // convert C to bf16
_buffer_store_b16 v240, v239, s[sgprSrdD:sgprSrdD+3], 0, offen, offset:0,  glc slc // store D
v_cmp_u_f32 s[52:53], v[vgprValuC+242], v[vgprValuC+242] // check Nan
v_bfe_u32 v134, v[vgprValuC+242], 16, 1            // Non-Nan case: store lsb of bf16
v_add3_u32 v134, v[vgprValuC+242], v134, v137      // Non-Nan case: add lsb and the increment for rounding
v_cndmask_b32 v[vgprValuC+242], v134, v136, s[52:53] // 
v_lshrrev_b32 v[vgprValuC+242], 16, v[vgprValuC+242] // convert C to bf16
_buffer_store_b16 v242, v241, s[sgprSrdD:sgprSrdD+3], 0, offen, offset:0,  glc slc // store D
v_cmp_u_f32 s[52:53], v[vgprValuC+244], v[vgprValuC+244] // check Nan
v_bfe_u32 v134, v[vgprValuC+244], 16, 1            // Non-Nan case: store lsb of bf16
v_add3_u32 v134, v[vgprValuC+244], v134, v137      // Non-Nan case: add lsb and the increment for rounding
v_cndmask_b32 v[vgprValuC+244], v134, v136, s[52:53] // 
v_lshrrev_b32 v[vgprValuC+244], 16, v[vgprValuC+244] // convert C to bf16
_buffer_store_b16 v244, v243, s[sgprSrdD:sgprSrdD+3], 0, offen, offset:0,  glc slc // store D
v_cmp_u_f32 s[52:53], v[vgprValuC+246], v[vgprValuC+246] // check Nan
v_bfe_u32 v134, v[vgprValuC+246], 16, 1            // Non-Nan case: store lsb of bf16
v_add3_u32 v134, v[vgprValuC+246], v134, v137      // Non-Nan case: add lsb and the increment for rounding
v_cndmask_b32 v[vgprValuC+246], v134, v136, s[52:53] // 
v_lshrrev_b32 v[vgprValuC+246], 16, v[vgprValuC+246] // convert C to bf16
_buffer_store_b16 v246, v245, s[sgprSrdD:sgprSrdD+3], 0, offen, offset:0,  glc slc // store D
v_cmp_u_f32 s[52:53], v[vgprValuC+248], v[vgprValuC+248] // check Nan
v_bfe_u32 v134, v[vgprValuC+248], 16, 1            // Non-Nan case: store lsb of bf16
v_add3_u32 v134, v[vgprValuC+248], v134, v137      // Non-Nan case: add lsb and the increment for rounding
v_cndmask_b32 v[vgprValuC+248], v134, v136, s[52:53] // 
v_lshrrev_b32 v[vgprValuC+248], 16, v[vgprValuC+248] // convert C to bf16
_buffer_store_b16 v248, v247, s[sgprSrdD:sgprSrdD+3], 0, offen, offset:0,  glc slc // store D
v_cmp_u_f32 s[52:53], v[vgprValuC+250], v[vgprValuC+250] // check Nan
v_bfe_u32 v134, v[vgprValuC+250], 16, 1            // Non-Nan case: store lsb of bf16
v_add3_u32 v134, v[vgprValuC+250], v134, v137      // Non-Nan case: add lsb and the increment for rounding
v_cndmask_b32 v[vgprValuC+250], v134, v136, s[52:53] // 
v_lshrrev_b32 v[vgprValuC+250], 16, v[vgprValuC+250] // convert C to bf16
_buffer_store_b16 v250, v249, s[sgprSrdD:sgprSrdD+3], 0, offen, offset:0,  glc slc // store D
v_cmp_u_f32 s[52:53], v[vgprValuC+252], v[vgprValuC+252] // check Nan
v_bfe_u32 v134, v[vgprValuC+252], 16, 1            // Non-Nan case: store lsb of bf16
v_add3_u32 v134, v[vgprValuC+252], v134, v137      // Non-Nan case: add lsb and the increment for rounding
v_cndmask_b32 v[vgprValuC+252], v134, v136, s[52:53] // 
v_lshrrev_b32 v[vgprValuC+252], 16, v[vgprValuC+252] // convert C to bf16
_buffer_store_b16 v252, v251, s[sgprSrdD:sgprSrdD+3], 0, offen, offset:0,  glc slc // store D
s_nop 0                                            // 1 wait state required when next inst writes vgprs held by previous dwordx4 store inst
/* optSingleColVgpr=0 optSharedColVgpr=0 optSGPRUsage=BufferLoad_Edge_Mask optSrdIncForRow=0 */

/******************************************/
/* Global Write Alpha Edge Batch #1 (d1,d0,vc1,vc0) = */
/*    (3,0,4,0:vw1); (3,0,4,1:vw1); (3,0,5,0:vw1); (3,0,5,1:vw1); (3,0,6,0:vw1); (3,0,6,1:vw1); (3,0,7,0:vw1); (3,0,7,1:vw1); (4,0,0,0:vw1); (4,0,0,1:vw1); (4,0,1,0:vw1); (4,0,1,1:vw1); (4,0,2,0:vw1); (4,0,2,1:vw1); (4,0,3,0:vw1); (4,0,3,1:vw1); (4,0,4,0:vw1); (4,0,4,1:vw1); (4,0,5,0:vw1); (4,0,5,1:vw1); (4,0,6,0:vw1); (4,0,6,1:vw1); (4,0,7,0:vw1); (4,0,7,1:vw1); (5,0,0,0:vw1); (5,0,0,1:vw1); (5,0,1,0:vw1); (5,0,1,1:vw1); (5,0,2,0:vw1); (5,0,2,1:vw1); (5,0,3,0:vw1); (5,0,3,1:vw1); (5,0,4,0:vw1); (5,0,4,1:vw1); (5,0,5,0:vw1); (5,0,5,1:vw1); (5,0,6,0:vw1); (5,0,6,1:vw1); (5,0,7,0:vw1); (5,0,7,1:vw1); (6,0,0,0:vw1); (6,0,0,1:vw1); (6,0,1,0:vw1); (6,0,1,1:vw1); (6,0,2,0:vw1); (6,0,2,1:vw1); (6,0,3,0:vw1); (6,0,3,1:vw1); (6,0,4,0:vw1); (6,0,4,1:vw1); (6,0,5,0:vw1); (6,0,5,1:vw1); (6,0,6,0:vw1); (6,0,6,1:vw1); (6,0,7,0:vw1); (6,0,7,1:vw1) */
/******************************************/

/* calc coords, apply mask, and issue loads (if necessary) */
/* (d1,vc1,d0,vc0)=(3,4,0,0) */
_v_add_co_u32 v129, vcc, v129, 1                   // coord1.1: coord1Vgpr += d1*sg1*VW + vc1

/* Fix for UseInitialStridesCD, emitAddressSetupCode */
_v_add_u32 v130, v130, s[sgprStrideC1J]            // ROWINC- Move cinRowPtr to next row
_v_add_u32 v131, v131, s[sgprStrideD1J]            // Move coutRowPtr to next row
v_cmp_lt_u32 s[52:53], v128, s[sgprSizeI]          // coord0 < size0
v_cmp_lt_u32 s[56:57], v129, s[sgprSizeJ]          // coord1 < size1
s_and_b64 s[56:57], s[52:53], s[56:57]             // in0 && in1
_v_add_lshl_u32 v138, v131, v128, 0x1              // scaleToBpe: accumulate d0 lower and *= bpe into Cin addr
v_cndmask_b32 v138, -1, v138, s[56:57]             // LDD clip if OOB. offset
/* (d1,vc1,d0,vc0)=(3,4,0,1) */
_v_add_co_u32 v132, vcc, v128, 1                   // coord0.1: coord0 += d0*sg0*VW + vc0
v_cmp_lt_u32 s[52:53], v132, s[sgprSizeI]          // coord0 < size0
v_cmp_lt_u32 s[56:57], v129, s[sgprSizeJ]          // coord1 < size1
s_and_b64 s[56:57], s[52:53], s[56:57]             // in0 && in1
_v_add_lshl_u32 v140, v131, v132, 0x1              // scaleToBpe: accumulate d0 lower and *= bpe into Cin addr
v_cndmask_b32 v140, -1, v140, s[56:57]             // LDD clip if OOB. offset
/* (d1,vc1,d0,vc0)=(3,5,0,0) */
_v_add_co_u32 v129, vcc, v129, 1                   // coord1.1: coord1Vgpr += d1*sg1*VW + vc1

/* Fix for UseInitialStridesCD, emitAddressSetupCode */
_v_add_u32 v130, v130, s[sgprStrideC1J]            // ROWINC- Move cinRowPtr to next row
_v_add_u32 v131, v131, s[sgprStrideD1J]            // Move coutRowPtr to next row
v_cmp_lt_u32 s[52:53], v128, s[sgprSizeI]          // coord0 < size0
v_cmp_lt_u32 s[56:57], v129, s[sgprSizeJ]          // coord1 < size1
s_and_b64 s[56:57], s[52:53], s[56:57]             // in0 && in1
_v_add_lshl_u32 v142, v131, v128, 0x1              // scaleToBpe: accumulate d0 lower and *= bpe into Cin addr
v_cndmask_b32 v142, -1, v142, s[56:57]             // LDD clip if OOB. offset
/* (d1,vc1,d0,vc0)=(3,5,0,1) */
_v_add_co_u32 v132, vcc, v128, 1                   // coord0.1: coord0 += d0*sg0*VW + vc0
v_cmp_lt_u32 s[52:53], v132, s[sgprSizeI]          // coord0 < size0
v_cmp_lt_u32 s[56:57], v129, s[sgprSizeJ]          // coord1 < size1
s_and_b64 s[56:57], s[52:53], s[56:57]             // in0 && in1
_v_add_lshl_u32 v144, v131, v132, 0x1              // scaleToBpe: accumulate d0 lower and *= bpe into Cin addr
v_cndmask_b32 v144, -1, v144, s[56:57]             // LDD clip if OOB. offset
	;; [unrolled: 18-line block ×4, first 2 shown]
/* (d1,vc1,d0,vc0)=(4,0,0,0) */
s_mov_b32 s52, 73                                  // rowInc d1=0 vc1=0
_v_add_co_u32 v129, vcc, v129, s52                 // coord1.2: coord1 += d1*sg1*VW + vc1

/* Fix for UseInitialStridesCD, emitAddressSetupCode */
s_mul_i32 s52, s[sgprStrideC1J], 73                // scale stride
_v_add_u32 v130, v130, s52                         // ROWINC- Move cinRowPtr to next row
s_mul_i32 s52, s[sgprStrideD1J], 73                // scale stride
_v_add_u32 v131, v131, s52                         // Move coutRowPtr to next row
v_cmp_lt_u32 s[52:53], v128, s[sgprSizeI]          // coord0 < size0
v_cmp_lt_u32 s[56:57], v129, s[sgprSizeJ]          // coord1 < size1
s_and_b64 s[56:57], s[52:53], s[56:57]             // in0 && in1
_v_add_lshl_u32 v154, v131, v128, 0x1              // scaleToBpe: accumulate d0 lower and *= bpe into Cin addr
v_cndmask_b32 v154, -1, v154, s[56:57]             // LDD clip if OOB. offset
/* (d1,vc1,d0,vc0)=(4,0,0,1) */
_v_add_co_u32 v132, vcc, v128, 1                   // coord0.1: coord0 += d0*sg0*VW + vc0
v_cmp_lt_u32 s[52:53], v132, s[sgprSizeI]          // coord0 < size0
v_cmp_lt_u32 s[56:57], v129, s[sgprSizeJ]          // coord1 < size1
s_and_b64 s[56:57], s[52:53], s[56:57]             // in0 && in1
_v_add_lshl_u32 v156, v131, v132, 0x1              // scaleToBpe: accumulate d0 lower and *= bpe into Cin addr
v_cndmask_b32 v156, -1, v156, s[56:57]             // LDD clip if OOB. offset
/* (d1,vc1,d0,vc0)=(4,1,0,0) */
_v_add_co_u32 v129, vcc, v129, 1                   // coord1.1: coord1Vgpr += d1*sg1*VW + vc1

/* Fix for UseInitialStridesCD, emitAddressSetupCode */
_v_add_u32 v130, v130, s[sgprStrideC1J]            // ROWINC- Move cinRowPtr to next row
_v_add_u32 v131, v131, s[sgprStrideD1J]            // Move coutRowPtr to next row
v_cmp_lt_u32 s[52:53], v128, s[sgprSizeI]          // coord0 < size0
v_cmp_lt_u32 s[56:57], v129, s[sgprSizeJ]          // coord1 < size1
s_and_b64 s[56:57], s[52:53], s[56:57]             // in0 && in1
_v_add_lshl_u32 v158, v131, v128, 0x1              // scaleToBpe: accumulate d0 lower and *= bpe into Cin addr
v_cndmask_b32 v158, -1, v158, s[56:57]             // LDD clip if OOB. offset
/* (d1,vc1,d0,vc0)=(4,1,0,1) */
_v_add_co_u32 v132, vcc, v128, 1                   // coord0.1: coord0 += d0*sg0*VW + vc0
v_cmp_lt_u32 s[52:53], v132, s[sgprSizeI]          // coord0 < size0
v_cmp_lt_u32 s[56:57], v129, s[sgprSizeJ]          // coord1 < size1
s_and_b64 s[56:57], s[52:53], s[56:57]             // in0 && in1
_v_add_lshl_u32 v160, v131, v132, 0x1              // scaleToBpe: accumulate d0 lower and *= bpe into Cin addr
v_cndmask_b32 v160, -1, v160, s[56:57]             // LDD clip if OOB. offset
/* (d1,vc1,d0,vc0)=(4,2,0,0) */
_v_add_co_u32 v129, vcc, v129, 1                   // coord1.1: coord1Vgpr += d1*sg1*VW + vc1

/* Fix for UseInitialStridesCD, emitAddressSetupCode */
_v_add_u32 v130, v130, s[sgprStrideC1J]            // ROWINC- Move cinRowPtr to next row
_v_add_u32 v131, v131, s[sgprStrideD1J]            // Move coutRowPtr to next row
	;; [unrolled: 18-line block ×7, first 2 shown]
v_cmp_lt_u32 s[52:53], v128, s[sgprSizeI]          // coord0 < size0
v_cmp_lt_u32 s[56:57], v129, s[sgprSizeJ]          // coord1 < size1
s_and_b64 s[56:57], s[52:53], s[56:57]             // in0 && in1
_v_add_lshl_u32 v182, v131, v128, 0x1              // scaleToBpe: accumulate d0 lower and *= bpe into Cin addr
v_cndmask_b32 v182, -1, v182, s[56:57]             // LDD clip if OOB. offset
/* (d1,vc1,d0,vc0)=(4,7,0,1) */
_v_add_co_u32 v132, vcc, v128, 1                   // coord0.1: coord0 += d0*sg0*VW + vc0
v_cmp_lt_u32 s[52:53], v132, s[sgprSizeI]          // coord0 < size0
v_cmp_lt_u32 s[56:57], v129, s[sgprSizeJ]          // coord1 < size1
s_and_b64 s[56:57], s[52:53], s[56:57]             // in0 && in1
_v_add_lshl_u32 v184, v131, v132, 0x1              // scaleToBpe: accumulate d0 lower and *= bpe into Cin addr
v_cndmask_b32 v184, -1, v184, s[56:57]             // LDD clip if OOB. offset
/* (d1,vc1,d0,vc0)=(5,0,0,0) */
_v_add_co_u32 v129, vcc, v129, 9                   // coord1.1: coord1Vgpr += d1*sg1*VW + vc1

/* Fix for UseInitialStridesCD, emitAddressSetupCode */
s_mul_i32 s52, s[sgprStrideC1J], 9                 // scale stride
_v_add_u32 v130, v130, s52                         // ROWINC- Move cinRowPtr to next row
s_mul_i32 s52, s[sgprStrideD1J], 9                 // scale stride
_v_add_u32 v131, v131, s52                         // Move coutRowPtr to next row
v_cmp_lt_u32 s[52:53], v128, s[sgprSizeI]          // coord0 < size0
v_cmp_lt_u32 s[56:57], v129, s[sgprSizeJ]          // coord1 < size1
s_and_b64 s[56:57], s[52:53], s[56:57]             // in0 && in1
_v_add_lshl_u32 v186, v131, v128, 0x1              // scaleToBpe: accumulate d0 lower and *= bpe into Cin addr
v_cndmask_b32 v186, -1, v186, s[56:57]             // LDD clip if OOB. offset
/* (d1,vc1,d0,vc0)=(5,0,0,1) */
_v_add_co_u32 v132, vcc, v128, 1                   // coord0.1: coord0 += d0*sg0*VW + vc0
v_cmp_lt_u32 s[52:53], v132, s[sgprSizeI]          // coord0 < size0
v_cmp_lt_u32 s[56:57], v129, s[sgprSizeJ]          // coord1 < size1
s_and_b64 s[56:57], s[52:53], s[56:57]             // in0 && in1
_v_add_lshl_u32 v188, v131, v132, 0x1              // scaleToBpe: accumulate d0 lower and *= bpe into Cin addr
v_cndmask_b32 v188, -1, v188, s[56:57]             // LDD clip if OOB. offset
/* (d1,vc1,d0,vc0)=(5,1,0,0) */
_v_add_co_u32 v129, vcc, v129, 1                   // coord1.1: coord1Vgpr += d1*sg1*VW + vc1

/* Fix for UseInitialStridesCD, emitAddressSetupCode */
_v_add_u32 v130, v130, s[sgprStrideC1J]            // ROWINC- Move cinRowPtr to next row
_v_add_u32 v131, v131, s[sgprStrideD1J]            // Move coutRowPtr to next row
v_cmp_lt_u32 s[52:53], v128, s[sgprSizeI]          // coord0 < size0
v_cmp_lt_u32 s[56:57], v129, s[sgprSizeJ]          // coord1 < size1
s_and_b64 s[56:57], s[52:53], s[56:57]             // in0 && in1
_v_add_lshl_u32 v190, v131, v128, 0x1              // scaleToBpe: accumulate d0 lower and *= bpe into Cin addr
v_cndmask_b32 v190, -1, v190, s[56:57]             // LDD clip if OOB. offset
/* (d1,vc1,d0,vc0)=(5,1,0,1) */
_v_add_co_u32 v132, vcc, v128, 1                   // coord0.1: coord0 += d0*sg0*VW + vc0
v_cmp_lt_u32 s[52:53], v132, s[sgprSizeI]          // coord0 < size0
v_cmp_lt_u32 s[56:57], v129, s[sgprSizeJ]          // coord1 < size1
s_and_b64 s[56:57], s[52:53], s[56:57]             // in0 && in1
_v_add_lshl_u32 v192, v131, v132, 0x1              // scaleToBpe: accumulate d0 lower and *= bpe into Cin addr
v_cndmask_b32 v192, -1, v192, s[56:57]             // LDD clip if OOB. offset
/* (d1,vc1,d0,vc0)=(5,2,0,0) */
_v_add_co_u32 v129, vcc, v129, 1                   // coord1.1: coord1Vgpr += d1*sg1*VW + vc1

/* Fix for UseInitialStridesCD, emitAddressSetupCode */
_v_add_u32 v130, v130, s[sgprStrideC1J]            // ROWINC- Move cinRowPtr to next row
_v_add_u32 v131, v131, s[sgprStrideD1J]            // Move coutRowPtr to next row
	;; [unrolled: 18-line block ×7, first 2 shown]
v_cmp_lt_u32 s[52:53], v128, s[sgprSizeI]          // coord0 < size0
v_cmp_lt_u32 s[56:57], v129, s[sgprSizeJ]          // coord1 < size1
s_and_b64 s[56:57], s[52:53], s[56:57]             // in0 && in1
_v_add_lshl_u32 v217, v131, v128, 0x1              // scaleToBpe: accumulate d0 lower and *= bpe into Cin addr
v_cndmask_b32 v217, -1, v217, s[56:57]             // LDD clip if OOB. offset
/* (d1,vc1,d0,vc0)=(5,7,0,1) */
_v_add_co_u32 v132, vcc, v128, 1                   // coord0.1: coord0 += d0*sg0*VW + vc0
v_cmp_lt_u32 s[52:53], v132, s[sgprSizeI]          // coord0 < size0
v_cmp_lt_u32 s[56:57], v129, s[sgprSizeJ]          // coord1 < size1
s_and_b64 s[56:57], s[52:53], s[56:57]             // in0 && in1
_v_add_lshl_u32 v219, v131, v132, 0x1              // scaleToBpe: accumulate d0 lower and *= bpe into Cin addr
v_cndmask_b32 v219, -1, v219, s[56:57]             // LDD clip if OOB. offset
/* (d1,vc1,d0,vc0)=(6,0,0,0) */
_v_add_co_u32 v129, vcc, v129, 9                   // coord1.1: coord1Vgpr += d1*sg1*VW + vc1

/* Fix for UseInitialStridesCD, emitAddressSetupCode */
s_mul_i32 s52, s[sgprStrideC1J], 9                 // scale stride
_v_add_u32 v130, v130, s52                         // ROWINC- Move cinRowPtr to next row
s_mul_i32 s52, s[sgprStrideD1J], 9                 // scale stride
_v_add_u32 v131, v131, s52                         // Move coutRowPtr to next row
v_cmp_lt_u32 s[52:53], v128, s[sgprSizeI]          // coord0 < size0
v_cmp_lt_u32 s[56:57], v129, s[sgprSizeJ]          // coord1 < size1
s_and_b64 s[56:57], s[52:53], s[56:57]             // in0 && in1
_v_add_lshl_u32 v221, v131, v128, 0x1              // scaleToBpe: accumulate d0 lower and *= bpe into Cin addr
v_cndmask_b32 v221, -1, v221, s[56:57]             // LDD clip if OOB. offset
/* (d1,vc1,d0,vc0)=(6,0,0,1) */
_v_add_co_u32 v132, vcc, v128, 1                   // coord0.1: coord0 += d0*sg0*VW + vc0
v_cmp_lt_u32 s[52:53], v132, s[sgprSizeI]          // coord0 < size0
v_cmp_lt_u32 s[56:57], v129, s[sgprSizeJ]          // coord1 < size1
s_and_b64 s[56:57], s[52:53], s[56:57]             // in0 && in1
_v_add_lshl_u32 v223, v131, v132, 0x1              // scaleToBpe: accumulate d0 lower and *= bpe into Cin addr
v_cndmask_b32 v223, -1, v223, s[56:57]             // LDD clip if OOB. offset
/* (d1,vc1,d0,vc0)=(6,1,0,0) */
_v_add_co_u32 v129, vcc, v129, 1                   // coord1.1: coord1Vgpr += d1*sg1*VW + vc1

/* Fix for UseInitialStridesCD, emitAddressSetupCode */
_v_add_u32 v130, v130, s[sgprStrideC1J]            // ROWINC- Move cinRowPtr to next row
_v_add_u32 v131, v131, s[sgprStrideD1J]            // Move coutRowPtr to next row
v_cmp_lt_u32 s[52:53], v128, s[sgprSizeI]          // coord0 < size0
v_cmp_lt_u32 s[56:57], v129, s[sgprSizeJ]          // coord1 < size1
s_and_b64 s[56:57], s[52:53], s[56:57]             // in0 && in1
_v_add_lshl_u32 v225, v131, v128, 0x1              // scaleToBpe: accumulate d0 lower and *= bpe into Cin addr
v_cndmask_b32 v225, -1, v225, s[56:57]             // LDD clip if OOB. offset
/* (d1,vc1,d0,vc0)=(6,1,0,1) */
_v_add_co_u32 v132, vcc, v128, 1                   // coord0.1: coord0 += d0*sg0*VW + vc0
v_cmp_lt_u32 s[52:53], v132, s[sgprSizeI]          // coord0 < size0
v_cmp_lt_u32 s[56:57], v129, s[sgprSizeJ]          // coord1 < size1
s_and_b64 s[56:57], s[52:53], s[56:57]             // in0 && in1
_v_add_lshl_u32 v227, v131, v132, 0x1              // scaleToBpe: accumulate d0 lower and *= bpe into Cin addr
v_cndmask_b32 v227, -1, v227, s[56:57]             // LDD clip if OOB. offset
/* (d1,vc1,d0,vc0)=(6,2,0,0) */
_v_add_co_u32 v129, vcc, v129, 1                   // coord1.1: coord1Vgpr += d1*sg1*VW + vc1

/* Fix for UseInitialStridesCD, emitAddressSetupCode */
_v_add_u32 v130, v130, s[sgprStrideC1J]            // ROWINC- Move cinRowPtr to next row
_v_add_u32 v131, v131, s[sgprStrideD1J]            // Move coutRowPtr to next row
	;; [unrolled: 18-line block ×7, first 2 shown]
v_cmp_lt_u32 s[52:53], v128, s[sgprSizeI]          // coord0 < size0
v_cmp_lt_u32 s[56:57], v129, s[sgprSizeJ]          // coord1 < size1
s_and_b64 s[56:57], s[52:53], s[56:57]             // in0 && in1
_v_add_lshl_u32 v249, v131, v128, 0x1              // scaleToBpe: accumulate d0 lower and *= bpe into Cin addr
v_cndmask_b32 v249, -1, v249, s[56:57]             // LDD clip if OOB. offset
/* (d1,vc1,d0,vc0)=(6,7,0,1) */
_v_add_co_u32 v132, vcc, v128, 1                   // coord0.1: coord0 += d0*sg0*VW + vc0
v_cmp_lt_u32 s[52:53], v132, s[sgprSizeI]          // coord0 < size0
v_cmp_lt_u32 s[56:57], v129, s[sgprSizeJ]          // coord1 < size1
s_and_b64 s[56:57], s[52:53], s[56:57]             // in0 && in1
_v_add_lshl_u32 v251, v131, v132, 0x1              // scaleToBpe: accumulate d0 lower and *= bpe into Cin addr
v_cndmask_b32 v251, -1, v251, s[56:57]             // LDD clip if OOB. offset

/* rC *= alpha batchElements=[(3, 0, 4, 0), (3, 0, 4, 1), (3, 0, 5, 0), (3, 0, 5, 1), (3, 0, 6, 0), (3, 0, 6, 1), (3, 0, 7, 0), (3, 0, 7, 1), (4, 0, 0, 0), (4, 0, 0, 1), (4, 0, 1, 0), (4, 0, 1, 1), (4, 0, 2, 0), (4, 0, 2, 1), (4, 0, 3, 0), (4, 0, 3, 1), (4, 0, 4, 0), (4, 0, 4, 1), (4, 0, 5, 0), (4, 0, 5, 1), (4, 0, 6, 0), (4, 0, 6, 1), (4, 0, 7, 0), (4, 0, 7, 1), (5, 0, 0, 0), (5, 0, 0, 1), (5, 0, 1, 0), (5, 0, 1, 1), (5, 0, 2, 0), (5, 0, 2, 1), (5, 0, 3, 0), (5, 0, 3, 1), (5, 0, 4, 0), (5, 0, 4, 1), (5, 0, 5, 0), (5, 0, 5, 1), (5, 0, 6, 0), (5, 0, 6, 1), (5, 0, 7, 0), (5, 0, 7, 1), (6, 0, 0, 0), (6, 0, 0, 1), (6, 0, 1, 0), (6, 0, 1, 1), (6, 0, 2, 0), (6, 0, 2, 1), (6, 0, 3, 0), (6, 0, 3, 1), (6, 0, 4, 0), (6, 0, 4, 1), (6, 0, 5, 0), (6, 0, 5, 1), (6, 0, 6, 0), (6, 0, 6, 1), (6, 0, 7, 0), (6, 0, 7, 1)] */
v_mul_f32 v[vgprValuC+139], s[sgprAlpha], v[vgprValuC+14] // Multiply MI out reg with alpha
v_mul_f32 v[vgprValuC+141], s[sgprAlpha], v[vgprValuC+30] // Multiply MI out reg with alpha
	;; [unrolled: 1-line block ×56, first 2 shown]

/* apply mask, calc new C and issue writes */
v_mov_b32 v135, 0xffff0000                         // mask for pack two bfloat16 element to 32bit
v_mov_b32 v136, 0x7fff0000                         // fp32 Nan
v_mov_b32 v137, 0x7fff                             // rounding bias for bfloat16
v_cmp_u_f32 s[52:53], v[vgprValuC+139], v[vgprValuC+139] // check Nan
v_bfe_u32 v134, v[vgprValuC+139], 16, 1            // Non-Nan case: store lsb of bf16
v_add3_u32 v134, v[vgprValuC+139], v134, v137      // Non-Nan case: add lsb and the increment for rounding
v_cndmask_b32 v[vgprValuC+139], v134, v136, s[52:53] // 
v_lshrrev_b32 v[vgprValuC+139], 16, v[vgprValuC+139] // convert C to bf16
_buffer_store_b16 v139, v138, s[sgprSrdD:sgprSrdD+3], 0, offen, offset:0,  glc slc // store D
v_cmp_u_f32 s[52:53], v[vgprValuC+141], v[vgprValuC+141] // check Nan
v_bfe_u32 v134, v[vgprValuC+141], 16, 1            // Non-Nan case: store lsb of bf16
v_add3_u32 v134, v[vgprValuC+141], v134, v137      // Non-Nan case: add lsb and the increment for rounding
v_cndmask_b32 v[vgprValuC+141], v134, v136, s[52:53] // 
v_lshrrev_b32 v[vgprValuC+141], 16, v[vgprValuC+141] // convert C to bf16
_buffer_store_b16 v141, v140, s[sgprSrdD:sgprSrdD+3], 0, offen, offset:0,  glc slc // store D
	;; [unrolled: 6-line block ×56, first 2 shown]
s_nop 0                                            // 1 wait state required when next inst writes vgprs held by previous dwordx4 store inst
/* optSingleColVgpr=0 optSharedColVgpr=0 optSGPRUsage=BufferLoad_Edge_Mask optSrdIncForRow=0 */

/******************************************/
/* Global Write Alpha Edge Batch #2 (d1,d0,vc1,vc0) = */
/*    (7,0,0,0:vw1); (7,0,0,1:vw1); (7,0,1,0:vw1); (7,0,1,1:vw1); (7,0,2,0:vw1); (7,0,2,1:vw1); (7,0,3,0:vw1); (7,0,3,1:vw1); (7,0,4,0:vw1); (7,0,4,1:vw1); (7,0,5,0:vw1); (7,0,5,1:vw1); (7,0,6,0:vw1); (7,0,6,1:vw1); (7,0,7,0:vw1); (7,0,7,1:vw1) */
/******************************************/

/* calc coords, apply mask, and issue loads (if necessary) */
/* (d1,vc1,d0,vc0)=(7,0,0,0) */
_v_add_co_u32 v129, vcc, v129, 9                   // coord1.1: coord1Vgpr += d1*sg1*VW + vc1

/* Fix for UseInitialStridesCD, emitAddressSetupCode */
s_mul_i32 s52, s[sgprStrideC1J], 9                 // scale stride
_v_add_u32 v130, v130, s52                         // ROWINC- Move cinRowPtr to next row
s_mul_i32 s52, s[sgprStrideD1J], 9                 // scale stride
_v_add_u32 v131, v131, s52                         // Move coutRowPtr to next row
v_cmp_lt_u32 s[52:53], v128, s[sgprSizeI]          // coord0 < size0
v_cmp_lt_u32 s[56:57], v129, s[sgprSizeJ]          // coord1 < size1
s_and_b64 s[56:57], s[52:53], s[56:57]             // in0 && in1
_v_add_lshl_u32 v138, v131, v128, 0x1              // scaleToBpe: accumulate d0 lower and *= bpe into Cin addr
v_cndmask_b32 v138, -1, v138, s[56:57]             // LDD clip if OOB. offset
/* (d1,vc1,d0,vc0)=(7,0,0,1) */
_v_add_co_u32 v132, vcc, v128, 1                   // coord0.1: coord0 += d0*sg0*VW + vc0
v_cmp_lt_u32 s[52:53], v132, s[sgprSizeI]          // coord0 < size0
v_cmp_lt_u32 s[56:57], v129, s[sgprSizeJ]          // coord1 < size1
s_and_b64 s[56:57], s[52:53], s[56:57]             // in0 && in1
_v_add_lshl_u32 v140, v131, v132, 0x1              // scaleToBpe: accumulate d0 lower and *= bpe into Cin addr
v_cndmask_b32 v140, -1, v140, s[56:57]             // LDD clip if OOB. offset
/* (d1,vc1,d0,vc0)=(7,1,0,0) */
_v_add_co_u32 v129, vcc, v129, 1                   // coord1.1: coord1Vgpr += d1*sg1*VW + vc1

/* Fix for UseInitialStridesCD, emitAddressSetupCode */
_v_add_u32 v130, v130, s[sgprStrideC1J]            // ROWINC- Move cinRowPtr to next row
_v_add_u32 v131, v131, s[sgprStrideD1J]            // Move coutRowPtr to next row
v_cmp_lt_u32 s[52:53], v128, s[sgprSizeI]          // coord0 < size0
v_cmp_lt_u32 s[56:57], v129, s[sgprSizeJ]          // coord1 < size1
s_and_b64 s[56:57], s[52:53], s[56:57]             // in0 && in1
_v_add_lshl_u32 v142, v131, v128, 0x1              // scaleToBpe: accumulate d0 lower and *= bpe into Cin addr
v_cndmask_b32 v142, -1, v142, s[56:57]             // LDD clip if OOB. offset
/* (d1,vc1,d0,vc0)=(7,1,0,1) */
_v_add_co_u32 v132, vcc, v128, 1                   // coord0.1: coord0 += d0*sg0*VW + vc0
v_cmp_lt_u32 s[52:53], v132, s[sgprSizeI]          // coord0 < size0
v_cmp_lt_u32 s[56:57], v129, s[sgprSizeJ]          // coord1 < size1
s_and_b64 s[56:57], s[52:53], s[56:57]             // in0 && in1
_v_add_lshl_u32 v144, v131, v132, 0x1              // scaleToBpe: accumulate d0 lower and *= bpe into Cin addr
v_cndmask_b32 v144, -1, v144, s[56:57]             // LDD clip if OOB. offset
/* (d1,vc1,d0,vc0)=(7,2,0,0) */
_v_add_co_u32 v129, vcc, v129, 1                   // coord1.1: coord1Vgpr += d1*sg1*VW + vc1

/* Fix for UseInitialStridesCD, emitAddressSetupCode */
_v_add_u32 v130, v130, s[sgprStrideC1J]            // ROWINC- Move cinRowPtr to next row
_v_add_u32 v131, v131, s[sgprStrideD1J]            // Move coutRowPtr to next row
	;; [unrolled: 18-line block ×7, first 2 shown]
v_cmp_lt_u32 s[52:53], v128, s[sgprSizeI]          // coord0 < size0
v_cmp_lt_u32 s[56:57], v129, s[sgprSizeJ]          // coord1 < size1
s_and_b64 s[56:57], s[52:53], s[56:57]             // in0 && in1
_v_add_lshl_u32 v166, v131, v128, 0x1              // scaleToBpe: accumulate d0 lower and *= bpe into Cin addr
v_cndmask_b32 v166, -1, v166, s[56:57]             // LDD clip if OOB. offset
/* (d1,vc1,d0,vc0)=(7,7,0,1) */
_v_add_co_u32 v132, vcc, v128, 1                   // coord0.1: coord0 += d0*sg0*VW + vc0
v_cmp_lt_u32 s[52:53], v132, s[sgprSizeI]          // coord0 < size0
v_cmp_lt_u32 s[56:57], v129, s[sgprSizeJ]          // coord1 < size1
s_and_b64 s[56:57], s[52:53], s[56:57]             // in0 && in1
_v_add_lshl_u32 v168, v131, v132, 0x1              // scaleToBpe: accumulate d0 lower and *= bpe into Cin addr
v_cndmask_b32 v168, -1, v168, s[56:57]             // LDD clip if OOB. offset

/* rC *= alpha batchElements=[(7, 0, 0, 0), (7, 0, 0, 1), (7, 0, 1, 0), (7, 0, 1, 1), (7, 0, 2, 0), (7, 0, 2, 1), (7, 0, 3, 0), (7, 0, 3, 1), (7, 0, 4, 0), (7, 0, 4, 1), (7, 0, 5, 0), (7, 0, 5, 1), (7, 0, 6, 0), (7, 0, 6, 1), (7, 0, 7, 0), (7, 0, 7, 1)] */
v_mul_f32 v[vgprValuC+139], s[sgprAlpha], v[vgprValuC+76] // Multiply MI out reg with alpha
v_mul_f32 v[vgprValuC+141], s[sgprAlpha], v[vgprValuC+92] // Multiply MI out reg with alpha
	;; [unrolled: 1-line block ×16, first 2 shown]

/* apply mask, calc new C and issue writes */
v_mov_b32 v135, 0xffff0000                         // mask for pack two bfloat16 element to 32bit
v_mov_b32 v136, 0x7fff0000                         // fp32 Nan
v_mov_b32 v137, 0x7fff                             // rounding bias for bfloat16
v_cmp_u_f32 s[52:53], v[vgprValuC+139], v[vgprValuC+139] // check Nan
v_bfe_u32 v134, v[vgprValuC+139], 16, 1            // Non-Nan case: store lsb of bf16
v_add3_u32 v134, v[vgprValuC+139], v134, v137      // Non-Nan case: add lsb and the increment for rounding
v_cndmask_b32 v[vgprValuC+139], v134, v136, s[52:53] // 
v_lshrrev_b32 v[vgprValuC+139], 16, v[vgprValuC+139] // convert C to bf16
_buffer_store_b16 v139, v138, s[sgprSrdD:sgprSrdD+3], 0, offen, offset:0,  glc slc // store D
v_cmp_u_f32 s[52:53], v[vgprValuC+141], v[vgprValuC+141] // check Nan
v_bfe_u32 v134, v[vgprValuC+141], 16, 1            // Non-Nan case: store lsb of bf16
v_add3_u32 v134, v[vgprValuC+141], v134, v137      // Non-Nan case: add lsb and the increment for rounding
v_cndmask_b32 v[vgprValuC+141], v134, v136, s[52:53] // 
v_lshrrev_b32 v[vgprValuC+141], 16, v[vgprValuC+141] // convert C to bf16
_buffer_store_b16 v141, v140, s[sgprSrdD:sgprSrdD+3], 0, offen, offset:0,  glc slc // store D
	;; [unrolled: 6-line block ×16, first 2 shown]
s_nop 0                                            // 1 wait state required when next inst writes vgprs held by previous dwordx4 store inst
s_branch label_GW_End_202                          // jump to end
GW_Beta_203:
s_and_b32 s32, 127, s[sgprSizeI]                   // s32 = s[sgprSizeI] % 128
s_add_u32 s33, -0x1, s[sgprNumWorkGroups0]         // 
s_cmp_ge_u32 s[sgprWorkGroup0], s33                // wg0 >= nwg0-1 ?
s_cselect_b32 s32, s32, 0                          // set rMT0
s_cmpk_gt_u32 s32, 0x0                             // rMT0 > 0
s_cbranch_scc1 GW_B1_E1_201                        // jump if edges required
s_and_b32 s32, 255, s[sgprSizeJ]                   // s32 = s[sgprSizeJ] % 256
s_add_u32 s33, -0x1, s[sgprNumWorkGroups1]         // 
s_cmp_ge_u32 s[sgprWorkGroup1], s33                // wg1 >= nwg1-1
s_cselect_b32 s32, s32, 0                          // set rMT1
s_cmpk_gt_u32 s32, 0x0                             // rMT1 > 0
s_cbranch_scc1 GW_B1_E1_201                        // jump if edges required
GW_B1_E0_198:

/* edge=0, allocate 2 sgpr. perBatchTmpS=2 perBatchMaskS=0 perElementMaskS=0 elementsPerBatch=36 */
/* optSingleColVgpr=1 optSharedColVgpr=0 optSGPRUsage=BufferLoad_Mask optSrdIncForRow=1 */

/******************************************/
/* Global Write Alpha Beta Batch #0 (d1,d0,vc1,vc0) = */
/*    (0,0,0,0:vw2); (0,0,1,0:vw2); (0,0,2,0:vw2); (0,0,3,0:vw2); (0,0,4,0:vw2); (0,0,5,0:vw2); (0,0,6,0:vw2); (0,0,7,0:vw2); (1,0,0,0:vw2); (1,0,1,0:vw2); (1,0,2,0:vw2); (1,0,3,0:vw2); (1,0,4,0:vw2); (1,0,5,0:vw2); (1,0,6,0:vw2); (1,0,7,0:vw2); (2,0,0,0:vw2); (2,0,1,0:vw2); (2,0,2,0:vw2); (2,0,3,0:vw2); (2,0,4,0:vw2); (2,0,5,0:vw2); (2,0,6,0:vw2); (2,0,7,0:vw2); (3,0,0,0:vw2); (3,0,1,0:vw2); (3,0,2,0:vw2); (3,0,3,0:vw2); (3,0,4,0:vw2); (3,0,5,0:vw2); (3,0,6,0:vw2); (3,0,7,0:vw2); (4,0,0,0:vw2); (4,0,1,0:vw2); (4,0,2,0:vw2); (4,0,3,0:vw2) */
/******************************************/

/* calc coords, apply mask, and issue loads (if necessary) */
/* (d1,vc1,d0,vc0)=(0,0,0,0) */
_v_add_lshl_u32 v139, v130, v128, 0x1              // optSingleColVgpr scaleToBpe: sharedAddrVgpr <- cinRowPtr + coord0, scaled by BPE. BSHERE:coord0=128, coord0Vgpr=128
_buffer_load_b32 v140, v139, s[sgprSrdC:sgprSrdC+3], 0, offen offset:0,  glc slc // load C for beta calc
/* (d1,vc1,d0,vc0)=(0,1,0,0) */
s_lshl_b32  s32, s[sgprStrideC1J], 1               // incToNextRow: Scale by BPE
s_add_u32  s[sgprSrdC+0], s[sgprSrdC+0], s32       // incToNextRow: gra SRD += inc(lower)
s_addc_u32  s[sgprSrdC+1], s[sgprSrdC+1], 0        // incToNextRow: gra SRD += inc(upper)
_buffer_load_b32 v141, v139, s[sgprSrdC:sgprSrdC+3], 0, offen offset:0,  glc slc // load C for beta calc
/* (d1,vc1,d0,vc0)=(0,2,0,0) */
s_lshl_b32  s32, s[sgprStrideC1J], 1               // incToNextRow: Scale by BPE
s_add_u32  s[sgprSrdC+0], s[sgprSrdC+0], s32       // incToNextRow: gra SRD += inc(lower)
s_addc_u32  s[sgprSrdC+1], s[sgprSrdC+1], 0        // incToNextRow: gra SRD += inc(upper)
_buffer_load_b32 v146, v139, s[sgprSrdC:sgprSrdC+3], 0, offen offset:0,  glc slc // load C for beta calc
/* (d1,vc1,d0,vc0)=(0,3,0,0) */
s_lshl_b32  s32, s[sgprStrideC1J], 1               // incToNextRow: Scale by BPE
s_add_u32  s[sgprSrdC+0], s[sgprSrdC+0], s32       // incToNextRow: gra SRD += inc(lower)
s_addc_u32  s[sgprSrdC+1], s[sgprSrdC+1], 0        // incToNextRow: gra SRD += inc(upper)
_buffer_load_b32 v147, v139, s[sgprSrdC:sgprSrdC+3], 0, offen offset:0,  glc slc // load C for beta calc
/* (d1,vc1,d0,vc0)=(0,4,0,0) */
s_lshl_b32  s32, s[sgprStrideC1J], 1               // incToNextRow: Scale by BPE
s_add_u32  s[sgprSrdC+0], s[sgprSrdC+0], s32       // incToNextRow: gra SRD += inc(lower)
s_addc_u32  s[sgprSrdC+1], s[sgprSrdC+1], 0        // incToNextRow: gra SRD += inc(upper)
_buffer_load_b32 v152, v139, s[sgprSrdC:sgprSrdC+3], 0, offen offset:0,  glc slc // load C for beta calc
/* (d1,vc1,d0,vc0)=(0,5,0,0) */
s_lshl_b32  s32, s[sgprStrideC1J], 1               // incToNextRow: Scale by BPE
s_add_u32  s[sgprSrdC+0], s[sgprSrdC+0], s32       // incToNextRow: gra SRD += inc(lower)
s_addc_u32  s[sgprSrdC+1], s[sgprSrdC+1], 0        // incToNextRow: gra SRD += inc(upper)
_buffer_load_b32 v153, v139, s[sgprSrdC:sgprSrdC+3], 0, offen offset:0,  glc slc // load C for beta calc
/* (d1,vc1,d0,vc0)=(0,6,0,0) */
s_lshl_b32  s32, s[sgprStrideC1J], 1               // incToNextRow: Scale by BPE
s_add_u32  s[sgprSrdC+0], s[sgprSrdC+0], s32       // incToNextRow: gra SRD += inc(lower)
s_addc_u32  s[sgprSrdC+1], s[sgprSrdC+1], 0        // incToNextRow: gra SRD += inc(upper)
_buffer_load_b32 v158, v139, s[sgprSrdC:sgprSrdC+3], 0, offen offset:0,  glc slc // load C for beta calc
/* (d1,vc1,d0,vc0)=(0,7,0,0) */
s_lshl_b32  s32, s[sgprStrideC1J], 1               // incToNextRow: Scale by BPE
s_add_u32  s[sgprSrdC+0], s[sgprSrdC+0], s32       // incToNextRow: gra SRD += inc(lower)
s_addc_u32  s[sgprSrdC+1], s[sgprSrdC+1], 0        // incToNextRow: gra SRD += inc(upper)
_buffer_load_b32 v159, v139, s[sgprSrdC:sgprSrdC+3], 0, offen offset:0,  glc slc // load C for beta calc
/* (d1,vc1,d0,vc0)=(1,0,0,0) */
s_mul_i32 s32, s[sgprStrideC1J], 18                // scale StrideC *= numRows(9) * bpe
s_add_u32  s[sgprSrdC+0], s[sgprSrdC+0], s32       // incToNextRow: gra SRD += inc(lower)
s_addc_u32  s[sgprSrdC+1], s[sgprSrdC+1], 0        // incToNextRow: gra SRD += inc(upper)
_buffer_load_b32 v164, v139, s[sgprSrdC:sgprSrdC+3], 0, offen offset:0,  glc slc // load C for beta calc
/* (d1,vc1,d0,vc0)=(1,1,0,0) */
s_lshl_b32  s32, s[sgprStrideC1J], 1               // incToNextRow: Scale by BPE
s_add_u32  s[sgprSrdC+0], s[sgprSrdC+0], s32       // incToNextRow: gra SRD += inc(lower)
s_addc_u32  s[sgprSrdC+1], s[sgprSrdC+1], 0        // incToNextRow: gra SRD += inc(upper)
_buffer_load_b32 v165, v139, s[sgprSrdC:sgprSrdC+3], 0, offen offset:0,  glc slc // load C for beta calc
/* (d1,vc1,d0,vc0)=(1,2,0,0) */
s_lshl_b32  s32, s[sgprStrideC1J], 1               // incToNextRow: Scale by BPE
s_add_u32  s[sgprSrdC+0], s[sgprSrdC+0], s32       // incToNextRow: gra SRD += inc(lower)
s_addc_u32  s[sgprSrdC+1], s[sgprSrdC+1], 0        // incToNextRow: gra SRD += inc(upper)
_buffer_load_b32 v170, v139, s[sgprSrdC:sgprSrdC+3], 0, offen offset:0,  glc slc // load C for beta calc
/* (d1,vc1,d0,vc0)=(1,3,0,0) */
s_lshl_b32  s32, s[sgprStrideC1J], 1               // incToNextRow: Scale by BPE
s_add_u32  s[sgprSrdC+0], s[sgprSrdC+0], s32       // incToNextRow: gra SRD += inc(lower)
s_addc_u32  s[sgprSrdC+1], s[sgprSrdC+1], 0        // incToNextRow: gra SRD += inc(upper)
_buffer_load_b32 v171, v139, s[sgprSrdC:sgprSrdC+3], 0, offen offset:0,  glc slc // load C for beta calc
/* (d1,vc1,d0,vc0)=(1,4,0,0) */
s_lshl_b32  s32, s[sgprStrideC1J], 1               // incToNextRow: Scale by BPE
s_add_u32  s[sgprSrdC+0], s[sgprSrdC+0], s32       // incToNextRow: gra SRD += inc(lower)
s_addc_u32  s[sgprSrdC+1], s[sgprSrdC+1], 0        // incToNextRow: gra SRD += inc(upper)
_buffer_load_b32 v176, v139, s[sgprSrdC:sgprSrdC+3], 0, offen offset:0,  glc slc // load C for beta calc
/* (d1,vc1,d0,vc0)=(1,5,0,0) */
s_lshl_b32  s32, s[sgprStrideC1J], 1               // incToNextRow: Scale by BPE
s_add_u32  s[sgprSrdC+0], s[sgprSrdC+0], s32       // incToNextRow: gra SRD += inc(lower)
s_addc_u32  s[sgprSrdC+1], s[sgprSrdC+1], 0        // incToNextRow: gra SRD += inc(upper)
_buffer_load_b32 v177, v139, s[sgprSrdC:sgprSrdC+3], 0, offen offset:0,  glc slc // load C for beta calc
/* (d1,vc1,d0,vc0)=(1,6,0,0) */
s_lshl_b32  s32, s[sgprStrideC1J], 1               // incToNextRow: Scale by BPE
s_add_u32  s[sgprSrdC+0], s[sgprSrdC+0], s32       // incToNextRow: gra SRD += inc(lower)
s_addc_u32  s[sgprSrdC+1], s[sgprSrdC+1], 0        // incToNextRow: gra SRD += inc(upper)
_buffer_load_b32 v182, v139, s[sgprSrdC:sgprSrdC+3], 0, offen offset:0,  glc slc // load C for beta calc
/* (d1,vc1,d0,vc0)=(1,7,0,0) */
s_lshl_b32  s32, s[sgprStrideC1J], 1               // incToNextRow: Scale by BPE
s_add_u32  s[sgprSrdC+0], s[sgprSrdC+0], s32       // incToNextRow: gra SRD += inc(lower)
s_addc_u32  s[sgprSrdC+1], s[sgprSrdC+1], 0        // incToNextRow: gra SRD += inc(upper)
_buffer_load_b32 v183, v139, s[sgprSrdC:sgprSrdC+3], 0, offen offset:0,  glc slc // load C for beta calc
/* (d1,vc1,d0,vc0)=(2,0,0,0) */
s_mul_i32 s32, s[sgprStrideC1J], 18                // scale StrideC *= numRows(9) * bpe
s_add_u32  s[sgprSrdC+0], s[sgprSrdC+0], s32       // incToNextRow: gra SRD += inc(lower)
s_addc_u32  s[sgprSrdC+1], s[sgprSrdC+1], 0        // incToNextRow: gra SRD += inc(upper)
	;; [unrolled: 40-line block ×3, first 2 shown]
_buffer_load_b32 v211, v139, s[sgprSrdC:sgprSrdC+3], 0, offen offset:0,  glc slc // load C for beta calc
/* (d1,vc1,d0,vc0)=(3,1,0,0) */
s_lshl_b32  s32, s[sgprStrideC1J], 1               // incToNextRow: Scale by BPE
s_add_u32  s[sgprSrdC+0], s[sgprSrdC+0], s32       // incToNextRow: gra SRD += inc(lower)
s_addc_u32  s[sgprSrdC+1], s[sgprSrdC+1], 0        // incToNextRow: gra SRD += inc(upper)
_buffer_load_b32 v218, v139, s[sgprSrdC:sgprSrdC+3], 0, offen offset:0,  glc slc // load C for beta calc
/* (d1,vc1,d0,vc0)=(3,2,0,0) */
s_lshl_b32  s32, s[sgprStrideC1J], 1               // incToNextRow: Scale by BPE
s_add_u32  s[sgprSrdC+0], s[sgprSrdC+0], s32       // incToNextRow: gra SRD += inc(lower)
s_addc_u32  s[sgprSrdC+1], s[sgprSrdC+1], 0        // incToNextRow: gra SRD += inc(upper)
	;; [unrolled: 5-line block ×7, first 2 shown]
_buffer_load_b32 v236, v139, s[sgprSrdC:sgprSrdC+3], 0, offen offset:0,  glc slc // load C for beta calc
/* (d1,vc1,d0,vc0)=(4,0,0,0) */
s_mul_i32 s32, s[sgprStrideC1J], 146               // scale StrideC *= numRows(73) * bpe
s_add_u32  s[sgprSrdC+0], s[sgprSrdC+0], s32       // incToNextRow: gra SRD += inc(lower)
s_addc_u32  s[sgprSrdC+1], s[sgprSrdC+1], 0        // incToNextRow: gra SRD += inc(upper)
_buffer_load_b32 v237, v139, s[sgprSrdC:sgprSrdC+3], 0, offen offset:0,  glc slc // load C for beta calc
/* (d1,vc1,d0,vc0)=(4,1,0,0) */
s_lshl_b32  s32, s[sgprStrideC1J], 1               // incToNextRow: Scale by BPE
s_add_u32  s[sgprSrdC+0], s[sgprSrdC+0], s32       // incToNextRow: gra SRD += inc(lower)
s_addc_u32  s[sgprSrdC+1], s[sgprSrdC+1], 0        // incToNextRow: gra SRD += inc(upper)
_buffer_load_b32 v242, v139, s[sgprSrdC:sgprSrdC+3], 0, offen offset:0,  glc slc // load C for beta calc
/* (d1,vc1,d0,vc0)=(4,2,0,0) */
s_lshl_b32  s32, s[sgprStrideC1J], 1               // incToNextRow: Scale by BPE
	;; [unrolled: 5-line block ×3, first 2 shown]
s_add_u32  s[sgprSrdC+0], s[sgprSrdC+0], s32       // incToNextRow: gra SRD += inc(lower)
s_addc_u32  s[sgprSrdC+1], s[sgprSrdC+1], 0        // incToNextRow: gra SRD += inc(upper)
_buffer_load_b32 v248, v139, s[sgprSrdC:sgprSrdC+3], 0, offen offset:0,  glc slc // load C for beta calc
_v_add_lshl_u32 v138, v131, v128, 0x1              // optSingleColVgpr scaleToBpe: sharedAddrVgpr <- cinRowPtr + coord0, scaled by BPE. BSHERE:coord0=128, coord0Vgpr=128

/* rC *= alpha batchElements=[(0, 0, 0, 0), (0, 0, 1, 0), (0, 0, 2, 0), (0, 0, 3, 0), (0, 0, 4, 0), (0, 0, 5, 0), (0, 0, 6, 0), (0, 0, 7, 0), (1, 0, 0, 0), (1, 0, 1, 0), (1, 0, 2, 0), (1, 0, 3, 0), (1, 0, 4, 0), (1, 0, 5, 0), (1, 0, 6, 0), (1, 0, 7, 0), (2, 0, 0, 0), (2, 0, 1, 0), (2, 0, 2, 0), (2, 0, 3, 0), (2, 0, 4, 0), (2, 0, 5, 0), (2, 0, 6, 0), (2, 0, 7, 0), (3, 0, 0, 0), (3, 0, 1, 0), (3, 0, 2, 0), (3, 0, 3, 0), (3, 0, 4, 0), (3, 0, 5, 0), (3, 0, 6, 0), (3, 0, 7, 0), (4, 0, 0, 0), (4, 0, 1, 0), (4, 0, 2, 0), (4, 0, 3, 0)] */
v_mul_f32 v[vgprValuC+142], s[sgprAlpha], v[vgprValuC+0] // Multiply MI out reg with alpha
v_mul_f32 v[vgprValuC+143], s[sgprAlpha], v[vgprValuC+16] // Multiply MI out reg with alpha
	;; [unrolled: 1-line block ×72, first 2 shown]

/* apply mask, calc new C and issue writes */
v_mov_b32 v135, 0xffff0000                         // mask for pack two bfloat16 element to 32bit
v_mov_b32 v136, 0x7fff0000                         // fp32 Nan
v_mov_b32 v137, 0x7fff                             // rounding bias for bfloat16

s_waitcnt vmcnt(35)                                // wait C (interleaved) 35 = 36 - 0 + 0 - 1
v_lshlrev_b32 v132, 16, v140                       // convert bf16 to fp32
_v_mac_f32 v[vgprValuC+142], v132, s[sgprBeta]     // finalSum = sum*alpha + C*beta
v_and_b32 v132, v140, v135                         // convert bf16 to fp32
_v_mac_f32 v[vgprValuC+143], v132, s[sgprBeta]     // finalSum = sum*alpha + C*beta
v_cmp_u_f32 s[32:33], v[vgprValuC+142], v[vgprValuC+142] // check Nan
v_bfe_u32 v134, v[vgprValuC+142], 16, 1            // Non-Nan case: store lsb of bf16
v_add3_u32 v134, v[vgprValuC+142], v134, v137      // Non-Nan case: add lsb and the increment for rounding
v_cndmask_b32 v[vgprValuC+142], v134, v136, s[32:33] // 
v_lshrrev_b32 v[vgprValuC+142], 16, v[vgprValuC+142] // convert C to bf16
v_cmp_u_f32 s[32:33], v[vgprValuC+143], v[vgprValuC+143] // check Nan
v_bfe_u32 v134, v[vgprValuC+143], 16, 1            // Non-Nan case: store lsb of bf16
v_add3_u32 v134, v[vgprValuC+143], v134, v137      // Non-Nan case: add lsb and the increment for rounding
v_cndmask_b32 v[vgprValuC+143], v134, v136, s[32:33] // 
v_and_or_b32 v142, v[vgprValuC+143], v135, v[vgprValuC+142] // pack two bf16 to dword
_buffer_store_b32 v142, v138, s[sgprSrdD:sgprSrdD+3], 0, offen, offset:0,  glc slc // store D

s_waitcnt vmcnt(35)                                // wait C (interleaved) 35 = 36 - 1 + 1 - 1
v_lshlrev_b32 v132, 16, v141                       // convert bf16 to fp32
_v_mac_f32 v[vgprValuC+144], v132, s[sgprBeta]     // finalSum = sum*alpha + C*beta
v_and_b32 v132, v141, v135                         // convert bf16 to fp32
_v_mac_f32 v[vgprValuC+145], v132, s[sgprBeta]     // finalSum = sum*alpha + C*beta
v_cmp_u_f32 s[32:33], v[vgprValuC+144], v[vgprValuC+144] // check Nan
v_bfe_u32 v134, v[vgprValuC+144], 16, 1            // Non-Nan case: store lsb of bf16
v_add3_u32 v134, v[vgprValuC+144], v134, v137      // Non-Nan case: add lsb and the increment for rounding
v_cndmask_b32 v[vgprValuC+144], v134, v136, s[32:33] // 
v_lshrrev_b32 v[vgprValuC+144], 16, v[vgprValuC+144] // convert C to bf16
v_cmp_u_f32 s[32:33], v[vgprValuC+145], v[vgprValuC+145] // check Nan
v_bfe_u32 v134, v[vgprValuC+145], 16, 1            // Non-Nan case: store lsb of bf16
v_add3_u32 v134, v[vgprValuC+145], v134, v137      // Non-Nan case: add lsb and the increment for rounding
v_cndmask_b32 v[vgprValuC+145], v134, v136, s[32:33] // 
v_and_or_b32 v144, v[vgprValuC+145], v135, v[vgprValuC+144] // pack two bf16 to dword
s_lshl_b32  s32, s[sgprStrideD1J], 1               // incToNextRow: Scale by BPE
s_add_u32  s[sgprSrdD+0], s[sgprSrdD+0], s32       // incToNextRow: gra SRD += inc(lower)
s_addc_u32  s[sgprSrdD+1], s[sgprSrdD+1], 0        // incToNextRow: gra SRD += inc(upper)
_buffer_store_b32 v144, v138, s[sgprSrdD:sgprSrdD+3], 0, offen, offset:0,  glc slc // store D

s_waitcnt vmcnt(35)                                // wait C (interleaved) 35 = 36 - 2 + 2 - 1
v_lshlrev_b32 v132, 16, v146                       // convert bf16 to fp32
_v_mac_f32 v[vgprValuC+148], v132, s[sgprBeta]     // finalSum = sum*alpha + C*beta
v_and_b32 v132, v146, v135                         // convert bf16 to fp32
_v_mac_f32 v[vgprValuC+149], v132, s[sgprBeta]     // finalSum = sum*alpha + C*beta
v_cmp_u_f32 s[32:33], v[vgprValuC+148], v[vgprValuC+148] // check Nan
v_bfe_u32 v134, v[vgprValuC+148], 16, 1            // Non-Nan case: store lsb of bf16
v_add3_u32 v134, v[vgprValuC+148], v134, v137      // Non-Nan case: add lsb and the increment for rounding
v_cndmask_b32 v[vgprValuC+148], v134, v136, s[32:33] // 
v_lshrrev_b32 v[vgprValuC+148], 16, v[vgprValuC+148] // convert C to bf16
v_cmp_u_f32 s[32:33], v[vgprValuC+149], v[vgprValuC+149] // check Nan
v_bfe_u32 v134, v[vgprValuC+149], 16, 1            // Non-Nan case: store lsb of bf16
v_add3_u32 v134, v[vgprValuC+149], v134, v137      // Non-Nan case: add lsb and the increment for rounding
v_cndmask_b32 v[vgprValuC+149], v134, v136, s[32:33] // 
v_and_or_b32 v148, v[vgprValuC+149], v135, v[vgprValuC+148] // pack two bf16 to dword
s_lshl_b32  s32, s[sgprStrideD1J], 1               // incToNextRow: Scale by BPE
s_add_u32  s[sgprSrdD+0], s[sgprSrdD+0], s32       // incToNextRow: gra SRD += inc(lower)
s_addc_u32  s[sgprSrdD+1], s[sgprSrdD+1], 0        // incToNextRow: gra SRD += inc(upper)
	;; [unrolled: 20-line block ×7, first 2 shown]
_buffer_store_b32 v162, v138, s[sgprSrdD:sgprSrdD+3], 0, offen, offset:0,  glc slc // store D

s_waitcnt vmcnt(35)                                // wait C (interleaved) 35 = 36 - 8 + 8 - 1
v_lshlrev_b32 v132, 16, v164                       // convert bf16 to fp32
_v_mac_f32 v[vgprValuC+166], v132, s[sgprBeta]     // finalSum = sum*alpha + C*beta
v_and_b32 v132, v164, v135                         // convert bf16 to fp32
_v_mac_f32 v[vgprValuC+167], v132, s[sgprBeta]     // finalSum = sum*alpha + C*beta
v_cmp_u_f32 s[32:33], v[vgprValuC+166], v[vgprValuC+166] // check Nan
v_bfe_u32 v134, v[vgprValuC+166], 16, 1            // Non-Nan case: store lsb of bf16
v_add3_u32 v134, v[vgprValuC+166], v134, v137      // Non-Nan case: add lsb and the increment for rounding
v_cndmask_b32 v[vgprValuC+166], v134, v136, s[32:33] // 
v_lshrrev_b32 v[vgprValuC+166], 16, v[vgprValuC+166] // convert C to bf16
v_cmp_u_f32 s[32:33], v[vgprValuC+167], v[vgprValuC+167] // check Nan
v_bfe_u32 v134, v[vgprValuC+167], 16, 1            // Non-Nan case: store lsb of bf16
v_add3_u32 v134, v[vgprValuC+167], v134, v137      // Non-Nan case: add lsb and the increment for rounding
v_cndmask_b32 v[vgprValuC+167], v134, v136, s[32:33] // 
v_and_or_b32 v166, v[vgprValuC+167], v135, v[vgprValuC+166] // pack two bf16 to dword
s_mul_i32 s32, s[sgprStrideD1J], 18                // scale StrideD *= numRows(9) * bpe
s_add_u32  s[sgprSrdD+0], s[sgprSrdD+0], s32       // incToNextRow: gra SRD += inc(lower)
s_addc_u32  s[sgprSrdD+1], s[sgprSrdD+1], 0        // incToNextRow: gra SRD += inc(upper)
_buffer_store_b32 v166, v138, s[sgprSrdD:sgprSrdD+3], 0, offen, offset:0,  glc slc // store D

s_waitcnt vmcnt(35)                                // wait C (interleaved) 35 = 36 - 9 + 9 - 1
v_lshlrev_b32 v132, 16, v165                       // convert bf16 to fp32
_v_mac_f32 v[vgprValuC+168], v132, s[sgprBeta]     // finalSum = sum*alpha + C*beta
v_and_b32 v132, v165, v135                         // convert bf16 to fp32
_v_mac_f32 v[vgprValuC+169], v132, s[sgprBeta]     // finalSum = sum*alpha + C*beta
v_cmp_u_f32 s[32:33], v[vgprValuC+168], v[vgprValuC+168] // check Nan
v_bfe_u32 v134, v[vgprValuC+168], 16, 1            // Non-Nan case: store lsb of bf16
v_add3_u32 v134, v[vgprValuC+168], v134, v137      // Non-Nan case: add lsb and the increment for rounding
v_cndmask_b32 v[vgprValuC+168], v134, v136, s[32:33] // 
v_lshrrev_b32 v[vgprValuC+168], 16, v[vgprValuC+168] // convert C to bf16
v_cmp_u_f32 s[32:33], v[vgprValuC+169], v[vgprValuC+169] // check Nan
v_bfe_u32 v134, v[vgprValuC+169], 16, 1            // Non-Nan case: store lsb of bf16
v_add3_u32 v134, v[vgprValuC+169], v134, v137      // Non-Nan case: add lsb and the increment for rounding
v_cndmask_b32 v[vgprValuC+169], v134, v136, s[32:33] // 
v_and_or_b32 v168, v[vgprValuC+169], v135, v[vgprValuC+168] // pack two bf16 to dword
s_lshl_b32  s32, s[sgprStrideD1J], 1               // incToNextRow: Scale by BPE
s_add_u32  s[sgprSrdD+0], s[sgprSrdD+0], s32       // incToNextRow: gra SRD += inc(lower)
s_addc_u32  s[sgprSrdD+1], s[sgprSrdD+1], 0        // incToNextRow: gra SRD += inc(upper)
_buffer_store_b32 v168, v138, s[sgprSrdD:sgprSrdD+3], 0, offen, offset:0,  glc slc // store D

s_waitcnt vmcnt(35)                                // wait C (interleaved) 35 = 36 - 10 + 10 - 1
v_lshlrev_b32 v132, 16, v170                       // convert bf16 to fp32
_v_mac_f32 v[vgprValuC+172], v132, s[sgprBeta]     // finalSum = sum*alpha + C*beta
v_and_b32 v132, v170, v135                         // convert bf16 to fp32
_v_mac_f32 v[vgprValuC+173], v132, s[sgprBeta]     // finalSum = sum*alpha + C*beta
v_cmp_u_f32 s[32:33], v[vgprValuC+172], v[vgprValuC+172] // check Nan
v_bfe_u32 v134, v[vgprValuC+172], 16, 1            // Non-Nan case: store lsb of bf16
v_add3_u32 v134, v[vgprValuC+172], v134, v137      // Non-Nan case: add lsb and the increment for rounding
v_cndmask_b32 v[vgprValuC+172], v134, v136, s[32:33] // 
v_lshrrev_b32 v[vgprValuC+172], 16, v[vgprValuC+172] // convert C to bf16
v_cmp_u_f32 s[32:33], v[vgprValuC+173], v[vgprValuC+173] // check Nan
v_bfe_u32 v134, v[vgprValuC+173], 16, 1            // Non-Nan case: store lsb of bf16
v_add3_u32 v134, v[vgprValuC+173], v134, v137      // Non-Nan case: add lsb and the increment for rounding
v_cndmask_b32 v[vgprValuC+173], v134, v136, s[32:33] // 
v_and_or_b32 v172, v[vgprValuC+173], v135, v[vgprValuC+172] // pack two bf16 to dword
s_lshl_b32  s32, s[sgprStrideD1J], 1               // incToNextRow: Scale by BPE
	;; [unrolled: 20-line block ×7, first 2 shown]
s_add_u32  s[sgprSrdD+0], s[sgprSrdD+0], s32       // incToNextRow: gra SRD += inc(lower)
s_addc_u32  s[sgprSrdD+1], s[sgprSrdD+1], 0        // incToNextRow: gra SRD += inc(upper)
_buffer_store_b32 v186, v138, s[sgprSrdD:sgprSrdD+3], 0, offen, offset:0,  glc slc // store D

s_waitcnt vmcnt(35)                                // wait C (interleaved) 35 = 36 - 16 + 16 - 1
v_lshlrev_b32 v132, 16, v188                       // convert bf16 to fp32
_v_mac_f32 v[vgprValuC+190], v132, s[sgprBeta]     // finalSum = sum*alpha + C*beta
v_and_b32 v132, v188, v135                         // convert bf16 to fp32
_v_mac_f32 v[vgprValuC+191], v132, s[sgprBeta]     // finalSum = sum*alpha + C*beta
v_cmp_u_f32 s[32:33], v[vgprValuC+190], v[vgprValuC+190] // check Nan
v_bfe_u32 v134, v[vgprValuC+190], 16, 1            // Non-Nan case: store lsb of bf16
v_add3_u32 v134, v[vgprValuC+190], v134, v137      // Non-Nan case: add lsb and the increment for rounding
v_cndmask_b32 v[vgprValuC+190], v134, v136, s[32:33] // 
v_lshrrev_b32 v[vgprValuC+190], 16, v[vgprValuC+190] // convert C to bf16
v_cmp_u_f32 s[32:33], v[vgprValuC+191], v[vgprValuC+191] // check Nan
v_bfe_u32 v134, v[vgprValuC+191], 16, 1            // Non-Nan case: store lsb of bf16
v_add3_u32 v134, v[vgprValuC+191], v134, v137      // Non-Nan case: add lsb and the increment for rounding
v_cndmask_b32 v[vgprValuC+191], v134, v136, s[32:33] // 
v_and_or_b32 v190, v[vgprValuC+191], v135, v[vgprValuC+190] // pack two bf16 to dword
s_mul_i32 s32, s[sgprStrideD1J], 18                // scale StrideD *= numRows(9) * bpe
s_add_u32  s[sgprSrdD+0], s[sgprSrdD+0], s32       // incToNextRow: gra SRD += inc(lower)
s_addc_u32  s[sgprSrdD+1], s[sgprSrdD+1], 0        // incToNextRow: gra SRD += inc(upper)
_buffer_store_b32 v190, v138, s[sgprSrdD:sgprSrdD+3], 0, offen, offset:0,  glc slc // store D

s_waitcnt vmcnt(35)                                // wait C (interleaved) 35 = 36 - 17 + 17 - 1
v_lshlrev_b32 v132, 16, v189                       // convert bf16 to fp32
_v_mac_f32 v[vgprValuC+192], v132, s[sgprBeta]     // finalSum = sum*alpha + C*beta
v_and_b32 v132, v189, v135                         // convert bf16 to fp32
_v_mac_f32 v[vgprValuC+193], v132, s[sgprBeta]     // finalSum = sum*alpha + C*beta
v_cmp_u_f32 s[32:33], v[vgprValuC+192], v[vgprValuC+192] // check Nan
v_bfe_u32 v134, v[vgprValuC+192], 16, 1            // Non-Nan case: store lsb of bf16
v_add3_u32 v134, v[vgprValuC+192], v134, v137      // Non-Nan case: add lsb and the increment for rounding
v_cndmask_b32 v[vgprValuC+192], v134, v136, s[32:33] // 
v_lshrrev_b32 v[vgprValuC+192], 16, v[vgprValuC+192] // convert C to bf16
v_cmp_u_f32 s[32:33], v[vgprValuC+193], v[vgprValuC+193] // check Nan
v_bfe_u32 v134, v[vgprValuC+193], 16, 1            // Non-Nan case: store lsb of bf16
v_add3_u32 v134, v[vgprValuC+193], v134, v137      // Non-Nan case: add lsb and the increment for rounding
v_cndmask_b32 v[vgprValuC+193], v134, v136, s[32:33] // 
v_and_or_b32 v192, v[vgprValuC+193], v135, v[vgprValuC+192] // pack two bf16 to dword
s_lshl_b32  s32, s[sgprStrideD1J], 1               // incToNextRow: Scale by BPE
s_add_u32  s[sgprSrdD+0], s[sgprSrdD+0], s32       // incToNextRow: gra SRD += inc(lower)
s_addc_u32  s[sgprSrdD+1], s[sgprSrdD+1], 0        // incToNextRow: gra SRD += inc(upper)
_buffer_store_b32 v192, v138, s[sgprSrdD:sgprSrdD+3], 0, offen, offset:0,  glc slc // store D

s_waitcnt vmcnt(35)                                // wait C (interleaved) 35 = 36 - 18 + 18 - 1
v_lshlrev_b32 v132, 16, v194                       // convert bf16 to fp32
_v_mac_f32 v[vgprValuC+196], v132, s[sgprBeta]     // finalSum = sum*alpha + C*beta
v_and_b32 v132, v194, v135                         // convert bf16 to fp32
_v_mac_f32 v[vgprValuC+197], v132, s[sgprBeta]     // finalSum = sum*alpha + C*beta
v_cmp_u_f32 s[32:33], v[vgprValuC+196], v[vgprValuC+196] // check Nan
v_bfe_u32 v134, v[vgprValuC+196], 16, 1            // Non-Nan case: store lsb of bf16
v_add3_u32 v134, v[vgprValuC+196], v134, v137      // Non-Nan case: add lsb and the increment for rounding
v_cndmask_b32 v[vgprValuC+196], v134, v136, s[32:33] // 
v_lshrrev_b32 v[vgprValuC+196], 16, v[vgprValuC+196] // convert C to bf16
v_cmp_u_f32 s[32:33], v[vgprValuC+197], v[vgprValuC+197] // check Nan
v_bfe_u32 v134, v[vgprValuC+197], 16, 1            // Non-Nan case: store lsb of bf16
v_add3_u32 v134, v[vgprValuC+197], v134, v137      // Non-Nan case: add lsb and the increment for rounding
v_cndmask_b32 v[vgprValuC+197], v134, v136, s[32:33] // 
v_and_or_b32 v196, v[vgprValuC+197], v135, v[vgprValuC+196] // pack two bf16 to dword
s_lshl_b32  s32, s[sgprStrideD1J], 1               // incToNextRow: Scale by BPE
	;; [unrolled: 20-line block ×7, first 2 shown]
s_add_u32  s[sgprSrdD+0], s[sgprSrdD+0], s32       // incToNextRow: gra SRD += inc(lower)
s_addc_u32  s[sgprSrdD+1], s[sgprSrdD+1], 0        // incToNextRow: gra SRD += inc(upper)
_buffer_store_b32 v214, v138, s[sgprSrdD:sgprSrdD+3], 0, offen, offset:0,  glc slc // store D

s_waitcnt vmcnt(35)                                // wait C (interleaved) 35 = 36 - 24 + 24 - 1
v_lshlrev_b32 v132, 16, v211                       // convert bf16 to fp32
_v_mac_f32 v[vgprValuC+216], v132, s[sgprBeta]     // finalSum = sum*alpha + C*beta
v_and_b32 v132, v211, v135                         // convert bf16 to fp32
_v_mac_f32 v[vgprValuC+217], v132, s[sgprBeta]     // finalSum = sum*alpha + C*beta
v_cmp_u_f32 s[32:33], v[vgprValuC+216], v[vgprValuC+216] // check Nan
v_bfe_u32 v134, v[vgprValuC+216], 16, 1            // Non-Nan case: store lsb of bf16
v_add3_u32 v134, v[vgprValuC+216], v134, v137      // Non-Nan case: add lsb and the increment for rounding
v_cndmask_b32 v[vgprValuC+216], v134, v136, s[32:33] // 
v_lshrrev_b32 v[vgprValuC+216], 16, v[vgprValuC+216] // convert C to bf16
v_cmp_u_f32 s[32:33], v[vgprValuC+217], v[vgprValuC+217] // check Nan
v_bfe_u32 v134, v[vgprValuC+217], 16, 1            // Non-Nan case: store lsb of bf16
v_add3_u32 v134, v[vgprValuC+217], v134, v137      // Non-Nan case: add lsb and the increment for rounding
v_cndmask_b32 v[vgprValuC+217], v134, v136, s[32:33] // 
v_and_or_b32 v216, v[vgprValuC+217], v135, v[vgprValuC+216] // pack two bf16 to dword
s_mul_i32 s32, s[sgprStrideD1J], 18                // scale StrideD *= numRows(9) * bpe
s_add_u32  s[sgprSrdD+0], s[sgprSrdD+0], s32       // incToNextRow: gra SRD += inc(lower)
s_addc_u32  s[sgprSrdD+1], s[sgprSrdD+1], 0        // incToNextRow: gra SRD += inc(upper)
_buffer_store_b32 v216, v138, s[sgprSrdD:sgprSrdD+3], 0, offen, offset:0,  glc slc // store D

s_waitcnt vmcnt(35)                                // wait C (interleaved) 35 = 36 - 25 + 25 - 1
v_lshlrev_b32 v132, 16, v218                       // convert bf16 to fp32
_v_mac_f32 v[vgprValuC+220], v132, s[sgprBeta]     // finalSum = sum*alpha + C*beta
v_and_b32 v132, v218, v135                         // convert bf16 to fp32
_v_mac_f32 v[vgprValuC+221], v132, s[sgprBeta]     // finalSum = sum*alpha + C*beta
v_cmp_u_f32 s[32:33], v[vgprValuC+220], v[vgprValuC+220] // check Nan
v_bfe_u32 v134, v[vgprValuC+220], 16, 1            // Non-Nan case: store lsb of bf16
v_add3_u32 v134, v[vgprValuC+220], v134, v137      // Non-Nan case: add lsb and the increment for rounding
v_cndmask_b32 v[vgprValuC+220], v134, v136, s[32:33] // 
v_lshrrev_b32 v[vgprValuC+220], 16, v[vgprValuC+220] // convert C to bf16
v_cmp_u_f32 s[32:33], v[vgprValuC+221], v[vgprValuC+221] // check Nan
v_bfe_u32 v134, v[vgprValuC+221], 16, 1            // Non-Nan case: store lsb of bf16
v_add3_u32 v134, v[vgprValuC+221], v134, v137      // Non-Nan case: add lsb and the increment for rounding
v_cndmask_b32 v[vgprValuC+221], v134, v136, s[32:33] // 
v_and_or_b32 v220, v[vgprValuC+221], v135, v[vgprValuC+220] // pack two bf16 to dword
s_lshl_b32  s32, s[sgprStrideD1J], 1               // incToNextRow: Scale by BPE
s_add_u32  s[sgprSrdD+0], s[sgprSrdD+0], s32       // incToNextRow: gra SRD += inc(lower)
s_addc_u32  s[sgprSrdD+1], s[sgprSrdD+1], 0        // incToNextRow: gra SRD += inc(upper)
_buffer_store_b32 v220, v138, s[sgprSrdD:sgprSrdD+3], 0, offen, offset:0,  glc slc // store D

s_waitcnt vmcnt(35)                                // wait C (interleaved) 35 = 36 - 26 + 26 - 1
v_lshlrev_b32 v132, 16, v219                       // convert bf16 to fp32
_v_mac_f32 v[vgprValuC+222], v132, s[sgprBeta]     // finalSum = sum*alpha + C*beta
v_and_b32 v132, v219, v135                         // convert bf16 to fp32
_v_mac_f32 v[vgprValuC+223], v132, s[sgprBeta]     // finalSum = sum*alpha + C*beta
v_cmp_u_f32 s[32:33], v[vgprValuC+222], v[vgprValuC+222] // check Nan
v_bfe_u32 v134, v[vgprValuC+222], 16, 1            // Non-Nan case: store lsb of bf16
v_add3_u32 v134, v[vgprValuC+222], v134, v137      // Non-Nan case: add lsb and the increment for rounding
v_cndmask_b32 v[vgprValuC+222], v134, v136, s[32:33] // 
v_lshrrev_b32 v[vgprValuC+222], 16, v[vgprValuC+222] // convert C to bf16
v_cmp_u_f32 s[32:33], v[vgprValuC+223], v[vgprValuC+223] // check Nan
v_bfe_u32 v134, v[vgprValuC+223], 16, 1            // Non-Nan case: store lsb of bf16
v_add3_u32 v134, v[vgprValuC+223], v134, v137      // Non-Nan case: add lsb and the increment for rounding
v_cndmask_b32 v[vgprValuC+223], v134, v136, s[32:33] // 
v_and_or_b32 v222, v[vgprValuC+223], v135, v[vgprValuC+222] // pack two bf16 to dword
s_lshl_b32  s32, s[sgprStrideD1J], 1               // incToNextRow: Scale by BPE
	;; [unrolled: 20-line block ×7, first 2 shown]
s_add_u32  s[sgprSrdD+0], s[sgprSrdD+0], s32       // incToNextRow: gra SRD += inc(lower)
s_addc_u32  s[sgprSrdD+1], s[sgprSrdD+1], 0        // incToNextRow: gra SRD += inc(upper)
_buffer_store_b32 v238, v138, s[sgprSrdD:sgprSrdD+3], 0, offen, offset:0,  glc slc // store D

s_waitcnt vmcnt(35)                                // wait C (interleaved) 35 = 36 - 32 + 32 - 1
v_lshlrev_b32 v132, 16, v237                       // convert bf16 to fp32
_v_mac_f32 v[vgprValuC+240], v132, s[sgprBeta]     // finalSum = sum*alpha + C*beta
v_and_b32 v132, v237, v135                         // convert bf16 to fp32
_v_mac_f32 v[vgprValuC+241], v132, s[sgprBeta]     // finalSum = sum*alpha + C*beta
v_cmp_u_f32 s[32:33], v[vgprValuC+240], v[vgprValuC+240] // check Nan
v_bfe_u32 v134, v[vgprValuC+240], 16, 1            // Non-Nan case: store lsb of bf16
v_add3_u32 v134, v[vgprValuC+240], v134, v137      // Non-Nan case: add lsb and the increment for rounding
v_cndmask_b32 v[vgprValuC+240], v134, v136, s[32:33] // 
v_lshrrev_b32 v[vgprValuC+240], 16, v[vgprValuC+240] // convert C to bf16
v_cmp_u_f32 s[32:33], v[vgprValuC+241], v[vgprValuC+241] // check Nan
v_bfe_u32 v134, v[vgprValuC+241], 16, 1            // Non-Nan case: store lsb of bf16
v_add3_u32 v134, v[vgprValuC+241], v134, v137      // Non-Nan case: add lsb and the increment for rounding
v_cndmask_b32 v[vgprValuC+241], v134, v136, s[32:33] // 
v_and_or_b32 v240, v[vgprValuC+241], v135, v[vgprValuC+240] // pack two bf16 to dword
s_mul_i32 s32, s[sgprStrideD1J], 146               // scale StrideD *= numRows(73) * bpe
s_add_u32  s[sgprSrdD+0], s[sgprSrdD+0], s32       // incToNextRow: gra SRD += inc(lower)
s_addc_u32  s[sgprSrdD+1], s[sgprSrdD+1], 0        // incToNextRow: gra SRD += inc(upper)
_buffer_store_b32 v240, v138, s[sgprSrdD:sgprSrdD+3], 0, offen, offset:0,  glc slc // store D

s_waitcnt vmcnt(35)                                // wait C (interleaved) 35 = 36 - 33 + 33 - 1
v_lshlrev_b32 v132, 16, v242                       // convert bf16 to fp32
_v_mac_f32 v[vgprValuC+244], v132, s[sgprBeta]     // finalSum = sum*alpha + C*beta
v_and_b32 v132, v242, v135                         // convert bf16 to fp32
_v_mac_f32 v[vgprValuC+245], v132, s[sgprBeta]     // finalSum = sum*alpha + C*beta
v_cmp_u_f32 s[32:33], v[vgprValuC+244], v[vgprValuC+244] // check Nan
v_bfe_u32 v134, v[vgprValuC+244], 16, 1            // Non-Nan case: store lsb of bf16
v_add3_u32 v134, v[vgprValuC+244], v134, v137      // Non-Nan case: add lsb and the increment for rounding
v_cndmask_b32 v[vgprValuC+244], v134, v136, s[32:33] // 
v_lshrrev_b32 v[vgprValuC+244], 16, v[vgprValuC+244] // convert C to bf16
v_cmp_u_f32 s[32:33], v[vgprValuC+245], v[vgprValuC+245] // check Nan
v_bfe_u32 v134, v[vgprValuC+245], 16, 1            // Non-Nan case: store lsb of bf16
v_add3_u32 v134, v[vgprValuC+245], v134, v137      // Non-Nan case: add lsb and the increment for rounding
v_cndmask_b32 v[vgprValuC+245], v134, v136, s[32:33] // 
v_and_or_b32 v244, v[vgprValuC+245], v135, v[vgprValuC+244] // pack two bf16 to dword
s_lshl_b32  s32, s[sgprStrideD1J], 1               // incToNextRow: Scale by BPE
s_add_u32  s[sgprSrdD+0], s[sgprSrdD+0], s32       // incToNextRow: gra SRD += inc(lower)
s_addc_u32  s[sgprSrdD+1], s[sgprSrdD+1], 0        // incToNextRow: gra SRD += inc(upper)
_buffer_store_b32 v244, v138, s[sgprSrdD:sgprSrdD+3], 0, offen, offset:0,  glc slc // store D

s_waitcnt vmcnt(35)                                // wait C (interleaved) 35 = 36 - 34 + 34 - 1
v_lshlrev_b32 v132, 16, v243                       // convert bf16 to fp32
_v_mac_f32 v[vgprValuC+246], v132, s[sgprBeta]     // finalSum = sum*alpha + C*beta
v_and_b32 v132, v243, v135                         // convert bf16 to fp32
_v_mac_f32 v[vgprValuC+247], v132, s[sgprBeta]     // finalSum = sum*alpha + C*beta
v_cmp_u_f32 s[32:33], v[vgprValuC+246], v[vgprValuC+246] // check Nan
v_bfe_u32 v134, v[vgprValuC+246], 16, 1            // Non-Nan case: store lsb of bf16
v_add3_u32 v134, v[vgprValuC+246], v134, v137      // Non-Nan case: add lsb and the increment for rounding
v_cndmask_b32 v[vgprValuC+246], v134, v136, s[32:33] // 
v_lshrrev_b32 v[vgprValuC+246], 16, v[vgprValuC+246] // convert C to bf16
v_cmp_u_f32 s[32:33], v[vgprValuC+247], v[vgprValuC+247] // check Nan
v_bfe_u32 v134, v[vgprValuC+247], 16, 1            // Non-Nan case: store lsb of bf16
v_add3_u32 v134, v[vgprValuC+247], v134, v137      // Non-Nan case: add lsb and the increment for rounding
v_cndmask_b32 v[vgprValuC+247], v134, v136, s[32:33] // 
v_and_or_b32 v246, v[vgprValuC+247], v135, v[vgprValuC+246] // pack two bf16 to dword
s_lshl_b32  s32, s[sgprStrideD1J], 1               // incToNextRow: Scale by BPE
	;; [unrolled: 20-line block ×3, first 2 shown]
s_add_u32  s[sgprSrdD+0], s[sgprSrdD+0], s32       // incToNextRow: gra SRD += inc(lower)
s_addc_u32  s[sgprSrdD+1], s[sgprSrdD+1], 0        // incToNextRow: gra SRD += inc(upper)
_buffer_store_b32 v250, v138, s[sgprSrdD:sgprSrdD+3], 0, offen, offset:0,  glc slc // store D
s_nop 0                                            // 1 wait state required when next inst writes vgprs held by previous dwordx4 store inst
/* optSingleColVgpr=1 optSharedColVgpr=0 optSGPRUsage=BufferLoad_Mask optSrdIncForRow=1 */

/******************************************/
/* Global Write Alpha Beta Batch #1 (d1,d0,vc1,vc0) = */
/*    (4,0,4,0:vw2); (4,0,5,0:vw2); (4,0,6,0:vw2); (4,0,7,0:vw2); (5,0,0,0:vw2); (5,0,1,0:vw2); (5,0,2,0:vw2); (5,0,3,0:vw2); (5,0,4,0:vw2); (5,0,5,0:vw2); (5,0,6,0:vw2); (5,0,7,0:vw2); (6,0,0,0:vw2); (6,0,1,0:vw2); (6,0,2,0:vw2); (6,0,3,0:vw2); (6,0,4,0:vw2); (6,0,5,0:vw2); (6,0,6,0:vw2); (6,0,7,0:vw2); (7,0,0,0:vw2); (7,0,1,0:vw2); (7,0,2,0:vw2); (7,0,3,0:vw2); (7,0,4,0:vw2); (7,0,5,0:vw2); (7,0,6,0:vw2); (7,0,7,0:vw2) */
/******************************************/

/* calc coords, apply mask, and issue loads (if necessary) */
/* (d1,vc1,d0,vc0)=(4,4,0,0) */
s_lshl_b32  s32, s[sgprStrideC1J], 1               // incToNextRow: Scale by BPE
s_add_u32  s[sgprSrdC+0], s[sgprSrdC+0], s32       // incToNextRow: gra SRD += inc(lower)
s_addc_u32  s[sgprSrdC+1], s[sgprSrdC+1], 0        // incToNextRow: gra SRD += inc(upper)
_buffer_load_b32 v140, v139, s[sgprSrdC:sgprSrdC+3], 0, offen offset:0,  glc slc // load C for beta calc
/* (d1,vc1,d0,vc0)=(4,5,0,0) */
s_lshl_b32  s32, s[sgprStrideC1J], 1               // incToNextRow: Scale by BPE
s_add_u32  s[sgprSrdC+0], s[sgprSrdC+0], s32       // incToNextRow: gra SRD += inc(lower)
s_addc_u32  s[sgprSrdC+1], s[sgprSrdC+1], 0        // incToNextRow: gra SRD += inc(upper)
_buffer_load_b32 v141, v139, s[sgprSrdC:sgprSrdC+3], 0, offen offset:0,  glc slc // load C for beta calc
/* (d1,vc1,d0,vc0)=(4,6,0,0) */
s_lshl_b32  s32, s[sgprStrideC1J], 1               // incToNextRow: Scale by BPE
s_add_u32  s[sgprSrdC+0], s[sgprSrdC+0], s32       // incToNextRow: gra SRD += inc(lower)
s_addc_u32  s[sgprSrdC+1], s[sgprSrdC+1], 0        // incToNextRow: gra SRD += inc(upper)
_buffer_load_b32 v146, v139, s[sgprSrdC:sgprSrdC+3], 0, offen offset:0,  glc slc // load C for beta calc
/* (d1,vc1,d0,vc0)=(4,7,0,0) */
s_lshl_b32  s32, s[sgprStrideC1J], 1               // incToNextRow: Scale by BPE
s_add_u32  s[sgprSrdC+0], s[sgprSrdC+0], s32       // incToNextRow: gra SRD += inc(lower)
s_addc_u32  s[sgprSrdC+1], s[sgprSrdC+1], 0        // incToNextRow: gra SRD += inc(upper)
_buffer_load_b32 v147, v139, s[sgprSrdC:sgprSrdC+3], 0, offen offset:0,  glc slc // load C for beta calc
/* (d1,vc1,d0,vc0)=(5,0,0,0) */
s_mul_i32 s32, s[sgprStrideC1J], 18                // scale StrideC *= numRows(9) * bpe
s_add_u32  s[sgprSrdC+0], s[sgprSrdC+0], s32       // incToNextRow: gra SRD += inc(lower)
s_addc_u32  s[sgprSrdC+1], s[sgprSrdC+1], 0        // incToNextRow: gra SRD += inc(upper)
_buffer_load_b32 v152, v139, s[sgprSrdC:sgprSrdC+3], 0, offen offset:0,  glc slc // load C for beta calc
/* (d1,vc1,d0,vc0)=(5,1,0,0) */
s_lshl_b32  s32, s[sgprStrideC1J], 1               // incToNextRow: Scale by BPE
s_add_u32  s[sgprSrdC+0], s[sgprSrdC+0], s32       // incToNextRow: gra SRD += inc(lower)
s_addc_u32  s[sgprSrdC+1], s[sgprSrdC+1], 0        // incToNextRow: gra SRD += inc(upper)
_buffer_load_b32 v153, v139, s[sgprSrdC:sgprSrdC+3], 0, offen offset:0,  glc slc // load C for beta calc
/* (d1,vc1,d0,vc0)=(5,2,0,0) */
s_lshl_b32  s32, s[sgprStrideC1J], 1               // incToNextRow: Scale by BPE
s_add_u32  s[sgprSrdC+0], s[sgprSrdC+0], s32       // incToNextRow: gra SRD += inc(lower)
s_addc_u32  s[sgprSrdC+1], s[sgprSrdC+1], 0        // incToNextRow: gra SRD += inc(upper)
_buffer_load_b32 v158, v139, s[sgprSrdC:sgprSrdC+3], 0, offen offset:0,  glc slc // load C for beta calc
/* (d1,vc1,d0,vc0)=(5,3,0,0) */
s_lshl_b32  s32, s[sgprStrideC1J], 1               // incToNextRow: Scale by BPE
s_add_u32  s[sgprSrdC+0], s[sgprSrdC+0], s32       // incToNextRow: gra SRD += inc(lower)
s_addc_u32  s[sgprSrdC+1], s[sgprSrdC+1], 0        // incToNextRow: gra SRD += inc(upper)
_buffer_load_b32 v159, v139, s[sgprSrdC:sgprSrdC+3], 0, offen offset:0,  glc slc // load C for beta calc
/* (d1,vc1,d0,vc0)=(5,4,0,0) */
s_lshl_b32  s32, s[sgprStrideC1J], 1               // incToNextRow: Scale by BPE
s_add_u32  s[sgprSrdC+0], s[sgprSrdC+0], s32       // incToNextRow: gra SRD += inc(lower)
s_addc_u32  s[sgprSrdC+1], s[sgprSrdC+1], 0        // incToNextRow: gra SRD += inc(upper)
_buffer_load_b32 v164, v139, s[sgprSrdC:sgprSrdC+3], 0, offen offset:0,  glc slc // load C for beta calc
/* (d1,vc1,d0,vc0)=(5,5,0,0) */
s_lshl_b32  s32, s[sgprStrideC1J], 1               // incToNextRow: Scale by BPE
s_add_u32  s[sgprSrdC+0], s[sgprSrdC+0], s32       // incToNextRow: gra SRD += inc(lower)
s_addc_u32  s[sgprSrdC+1], s[sgprSrdC+1], 0        // incToNextRow: gra SRD += inc(upper)
_buffer_load_b32 v165, v139, s[sgprSrdC:sgprSrdC+3], 0, offen offset:0,  glc slc // load C for beta calc
/* (d1,vc1,d0,vc0)=(5,6,0,0) */
s_lshl_b32  s32, s[sgprStrideC1J], 1               // incToNextRow: Scale by BPE
s_add_u32  s[sgprSrdC+0], s[sgprSrdC+0], s32       // incToNextRow: gra SRD += inc(lower)
s_addc_u32  s[sgprSrdC+1], s[sgprSrdC+1], 0        // incToNextRow: gra SRD += inc(upper)
_buffer_load_b32 v170, v139, s[sgprSrdC:sgprSrdC+3], 0, offen offset:0,  glc slc // load C for beta calc
/* (d1,vc1,d0,vc0)=(5,7,0,0) */
s_lshl_b32  s32, s[sgprStrideC1J], 1               // incToNextRow: Scale by BPE
s_add_u32  s[sgprSrdC+0], s[sgprSrdC+0], s32       // incToNextRow: gra SRD += inc(lower)
s_addc_u32  s[sgprSrdC+1], s[sgprSrdC+1], 0        // incToNextRow: gra SRD += inc(upper)
_buffer_load_b32 v171, v139, s[sgprSrdC:sgprSrdC+3], 0, offen offset:0,  glc slc // load C for beta calc
/* (d1,vc1,d0,vc0)=(6,0,0,0) */
s_mul_i32 s32, s[sgprStrideC1J], 18                // scale StrideC *= numRows(9) * bpe
s_add_u32  s[sgprSrdC+0], s[sgprSrdC+0], s32       // incToNextRow: gra SRD += inc(lower)
s_addc_u32  s[sgprSrdC+1], s[sgprSrdC+1], 0        // incToNextRow: gra SRD += inc(upper)
_buffer_load_b32 v176, v139, s[sgprSrdC:sgprSrdC+3], 0, offen offset:0,  glc slc // load C for beta calc
/* (d1,vc1,d0,vc0)=(6,1,0,0) */
s_lshl_b32  s32, s[sgprStrideC1J], 1               // incToNextRow: Scale by BPE
s_add_u32  s[sgprSrdC+0], s[sgprSrdC+0], s32       // incToNextRow: gra SRD += inc(lower)
s_addc_u32  s[sgprSrdC+1], s[sgprSrdC+1], 0        // incToNextRow: gra SRD += inc(upper)
_buffer_load_b32 v177, v139, s[sgprSrdC:sgprSrdC+3], 0, offen offset:0,  glc slc // load C for beta calc
/* (d1,vc1,d0,vc0)=(6,2,0,0) */
s_lshl_b32  s32, s[sgprStrideC1J], 1               // incToNextRow: Scale by BPE
s_add_u32  s[sgprSrdC+0], s[sgprSrdC+0], s32       // incToNextRow: gra SRD += inc(lower)
s_addc_u32  s[sgprSrdC+1], s[sgprSrdC+1], 0        // incToNextRow: gra SRD += inc(upper)
_buffer_load_b32 v182, v139, s[sgprSrdC:sgprSrdC+3], 0, offen offset:0,  glc slc // load C for beta calc
/* (d1,vc1,d0,vc0)=(6,3,0,0) */
s_lshl_b32  s32, s[sgprStrideC1J], 1               // incToNextRow: Scale by BPE
s_add_u32  s[sgprSrdC+0], s[sgprSrdC+0], s32       // incToNextRow: gra SRD += inc(lower)
s_addc_u32  s[sgprSrdC+1], s[sgprSrdC+1], 0        // incToNextRow: gra SRD += inc(upper)
_buffer_load_b32 v183, v139, s[sgprSrdC:sgprSrdC+3], 0, offen offset:0,  glc slc // load C for beta calc
	;; [unrolled: 40-line block ×3, first 2 shown]
/* (d1,vc1,d0,vc0)=(7,4,0,0) */
s_lshl_b32  s32, s[sgprStrideC1J], 1               // incToNextRow: Scale by BPE
s_add_u32  s[sgprSrdC+0], s[sgprSrdC+0], s32       // incToNextRow: gra SRD += inc(lower)
s_addc_u32  s[sgprSrdC+1], s[sgprSrdC+1], 0        // incToNextRow: gra SRD += inc(upper)
_buffer_load_b32 v211, v139, s[sgprSrdC:sgprSrdC+3], 0, offen offset:0,  glc slc // load C for beta calc
/* (d1,vc1,d0,vc0)=(7,5,0,0) */
s_lshl_b32  s32, s[sgprStrideC1J], 1               // incToNextRow: Scale by BPE
s_add_u32  s[sgprSrdC+0], s[sgprSrdC+0], s32       // incToNextRow: gra SRD += inc(lower)
s_addc_u32  s[sgprSrdC+1], s[sgprSrdC+1], 0        // incToNextRow: gra SRD += inc(upper)
_buffer_load_b32 v218, v139, s[sgprSrdC:sgprSrdC+3], 0, offen offset:0,  glc slc // load C for beta calc
	;; [unrolled: 5-line block ×4, first 2 shown]

/* rC *= alpha batchElements=[(4, 0, 4, 0), (4, 0, 5, 0), (4, 0, 6, 0), (4, 0, 7, 0), (5, 0, 0, 0), (5, 0, 1, 0), (5, 0, 2, 0), (5, 0, 3, 0), (5, 0, 4, 0), (5, 0, 5, 0), (5, 0, 6, 0), (5, 0, 7, 0), (6, 0, 0, 0), (6, 0, 1, 0), (6, 0, 2, 0), (6, 0, 3, 0), (6, 0, 4, 0), (6, 0, 5, 0), (6, 0, 6, 0), (6, 0, 7, 0), (7, 0, 0, 0), (7, 0, 1, 0), (7, 0, 2, 0), (7, 0, 3, 0), (7, 0, 4, 0), (7, 0, 5, 0), (7, 0, 6, 0), (7, 0, 7, 0)] */
v_mul_f32 v[vgprValuC+142], s[sgprAlpha], v[vgprValuC+66] // Multiply MI out reg with alpha
v_mul_f32 v[vgprValuC+143], s[sgprAlpha], v[vgprValuC+82] // Multiply MI out reg with alpha
	;; [unrolled: 1-line block ×56, first 2 shown]

/* apply mask, calc new C and issue writes */
v_mov_b32 v135, 0xffff0000                         // mask for pack two bfloat16 element to 32bit
v_mov_b32 v136, 0x7fff0000                         // fp32 Nan
v_mov_b32 v137, 0x7fff                             // rounding bias for bfloat16

s_waitcnt vmcnt(27)                                // wait C (interleaved) 27 = 28 - 0 + 0 - 1
v_lshlrev_b32 v132, 16, v140                       // convert bf16 to fp32
_v_mac_f32 v[vgprValuC+142], v132, s[sgprBeta]     // finalSum = sum*alpha + C*beta
v_and_b32 v132, v140, v135                         // convert bf16 to fp32
_v_mac_f32 v[vgprValuC+143], v132, s[sgprBeta]     // finalSum = sum*alpha + C*beta
v_cmp_u_f32 s[32:33], v[vgprValuC+142], v[vgprValuC+142] // check Nan
v_bfe_u32 v134, v[vgprValuC+142], 16, 1            // Non-Nan case: store lsb of bf16
v_add3_u32 v134, v[vgprValuC+142], v134, v137      // Non-Nan case: add lsb and the increment for rounding
v_cndmask_b32 v[vgprValuC+142], v134, v136, s[32:33] // 
v_lshrrev_b32 v[vgprValuC+142], 16, v[vgprValuC+142] // convert C to bf16
v_cmp_u_f32 s[32:33], v[vgprValuC+143], v[vgprValuC+143] // check Nan
v_bfe_u32 v134, v[vgprValuC+143], 16, 1            // Non-Nan case: store lsb of bf16
v_add3_u32 v134, v[vgprValuC+143], v134, v137      // Non-Nan case: add lsb and the increment for rounding
v_cndmask_b32 v[vgprValuC+143], v134, v136, s[32:33] // 
v_and_or_b32 v142, v[vgprValuC+143], v135, v[vgprValuC+142] // pack two bf16 to dword
s_lshl_b32  s32, s[sgprStrideD1J], 1               // incToNextRow: Scale by BPE
s_add_u32  s[sgprSrdD+0], s[sgprSrdD+0], s32       // incToNextRow: gra SRD += inc(lower)
s_addc_u32  s[sgprSrdD+1], s[sgprSrdD+1], 0        // incToNextRow: gra SRD += inc(upper)
_buffer_store_b32 v142, v138, s[sgprSrdD:sgprSrdD+3], 0, offen, offset:0,  glc slc // store D

s_waitcnt vmcnt(27)                                // wait C (interleaved) 27 = 28 - 1 + 1 - 1
v_lshlrev_b32 v132, 16, v141                       // convert bf16 to fp32
_v_mac_f32 v[vgprValuC+144], v132, s[sgprBeta]     // finalSum = sum*alpha + C*beta
v_and_b32 v132, v141, v135                         // convert bf16 to fp32
_v_mac_f32 v[vgprValuC+145], v132, s[sgprBeta]     // finalSum = sum*alpha + C*beta
v_cmp_u_f32 s[32:33], v[vgprValuC+144], v[vgprValuC+144] // check Nan
v_bfe_u32 v134, v[vgprValuC+144], 16, 1            // Non-Nan case: store lsb of bf16
v_add3_u32 v134, v[vgprValuC+144], v134, v137      // Non-Nan case: add lsb and the increment for rounding
v_cndmask_b32 v[vgprValuC+144], v134, v136, s[32:33] // 
v_lshrrev_b32 v[vgprValuC+144], 16, v[vgprValuC+144] // convert C to bf16
v_cmp_u_f32 s[32:33], v[vgprValuC+145], v[vgprValuC+145] // check Nan
v_bfe_u32 v134, v[vgprValuC+145], 16, 1            // Non-Nan case: store lsb of bf16
v_add3_u32 v134, v[vgprValuC+145], v134, v137      // Non-Nan case: add lsb and the increment for rounding
v_cndmask_b32 v[vgprValuC+145], v134, v136, s[32:33] // 
v_and_or_b32 v144, v[vgprValuC+145], v135, v[vgprValuC+144] // pack two bf16 to dword
s_lshl_b32  s32, s[sgprStrideD1J], 1               // incToNextRow: Scale by BPE
s_add_u32  s[sgprSrdD+0], s[sgprSrdD+0], s32       // incToNextRow: gra SRD += inc(lower)
s_addc_u32  s[sgprSrdD+1], s[sgprSrdD+1], 0        // incToNextRow: gra SRD += inc(upper)
_buffer_store_b32 v144, v138, s[sgprSrdD:sgprSrdD+3], 0, offen, offset:0,  glc slc // store D
	;; [unrolled: 20-line block ×4, first 2 shown]

s_waitcnt vmcnt(27)                                // wait C (interleaved) 27 = 28 - 4 + 4 - 1
v_lshlrev_b32 v132, 16, v152                       // convert bf16 to fp32
_v_mac_f32 v[vgprValuC+154], v132, s[sgprBeta]     // finalSum = sum*alpha + C*beta
v_and_b32 v132, v152, v135                         // convert bf16 to fp32
_v_mac_f32 v[vgprValuC+155], v132, s[sgprBeta]     // finalSum = sum*alpha + C*beta
v_cmp_u_f32 s[32:33], v[vgprValuC+154], v[vgprValuC+154] // check Nan
v_bfe_u32 v134, v[vgprValuC+154], 16, 1            // Non-Nan case: store lsb of bf16
v_add3_u32 v134, v[vgprValuC+154], v134, v137      // Non-Nan case: add lsb and the increment for rounding
v_cndmask_b32 v[vgprValuC+154], v134, v136, s[32:33] // 
v_lshrrev_b32 v[vgprValuC+154], 16, v[vgprValuC+154] // convert C to bf16
v_cmp_u_f32 s[32:33], v[vgprValuC+155], v[vgprValuC+155] // check Nan
v_bfe_u32 v134, v[vgprValuC+155], 16, 1            // Non-Nan case: store lsb of bf16
v_add3_u32 v134, v[vgprValuC+155], v134, v137      // Non-Nan case: add lsb and the increment for rounding
v_cndmask_b32 v[vgprValuC+155], v134, v136, s[32:33] // 
v_and_or_b32 v154, v[vgprValuC+155], v135, v[vgprValuC+154] // pack two bf16 to dword
s_mul_i32 s32, s[sgprStrideD1J], 18                // scale StrideD *= numRows(9) * bpe
s_add_u32  s[sgprSrdD+0], s[sgprSrdD+0], s32       // incToNextRow: gra SRD += inc(lower)
s_addc_u32  s[sgprSrdD+1], s[sgprSrdD+1], 0        // incToNextRow: gra SRD += inc(upper)
_buffer_store_b32 v154, v138, s[sgprSrdD:sgprSrdD+3], 0, offen, offset:0,  glc slc // store D

s_waitcnt vmcnt(27)                                // wait C (interleaved) 27 = 28 - 5 + 5 - 1
v_lshlrev_b32 v132, 16, v153                       // convert bf16 to fp32
_v_mac_f32 v[vgprValuC+156], v132, s[sgprBeta]     // finalSum = sum*alpha + C*beta
v_and_b32 v132, v153, v135                         // convert bf16 to fp32
_v_mac_f32 v[vgprValuC+157], v132, s[sgprBeta]     // finalSum = sum*alpha + C*beta
v_cmp_u_f32 s[32:33], v[vgprValuC+156], v[vgprValuC+156] // check Nan
v_bfe_u32 v134, v[vgprValuC+156], 16, 1            // Non-Nan case: store lsb of bf16
v_add3_u32 v134, v[vgprValuC+156], v134, v137      // Non-Nan case: add lsb and the increment for rounding
v_cndmask_b32 v[vgprValuC+156], v134, v136, s[32:33] // 
v_lshrrev_b32 v[vgprValuC+156], 16, v[vgprValuC+156] // convert C to bf16
v_cmp_u_f32 s[32:33], v[vgprValuC+157], v[vgprValuC+157] // check Nan
v_bfe_u32 v134, v[vgprValuC+157], 16, 1            // Non-Nan case: store lsb of bf16
v_add3_u32 v134, v[vgprValuC+157], v134, v137      // Non-Nan case: add lsb and the increment for rounding
v_cndmask_b32 v[vgprValuC+157], v134, v136, s[32:33] // 
v_and_or_b32 v156, v[vgprValuC+157], v135, v[vgprValuC+156] // pack two bf16 to dword
s_lshl_b32  s32, s[sgprStrideD1J], 1               // incToNextRow: Scale by BPE
s_add_u32  s[sgprSrdD+0], s[sgprSrdD+0], s32       // incToNextRow: gra SRD += inc(lower)
s_addc_u32  s[sgprSrdD+1], s[sgprSrdD+1], 0        // incToNextRow: gra SRD += inc(upper)
_buffer_store_b32 v156, v138, s[sgprSrdD:sgprSrdD+3], 0, offen, offset:0,  glc slc // store D

s_waitcnt vmcnt(27)                                // wait C (interleaved) 27 = 28 - 6 + 6 - 1
v_lshlrev_b32 v132, 16, v158                       // convert bf16 to fp32
_v_mac_f32 v[vgprValuC+160], v132, s[sgprBeta]     // finalSum = sum*alpha + C*beta
v_and_b32 v132, v158, v135                         // convert bf16 to fp32
_v_mac_f32 v[vgprValuC+161], v132, s[sgprBeta]     // finalSum = sum*alpha + C*beta
v_cmp_u_f32 s[32:33], v[vgprValuC+160], v[vgprValuC+160] // check Nan
v_bfe_u32 v134, v[vgprValuC+160], 16, 1            // Non-Nan case: store lsb of bf16
v_add3_u32 v134, v[vgprValuC+160], v134, v137      // Non-Nan case: add lsb and the increment for rounding
v_cndmask_b32 v[vgprValuC+160], v134, v136, s[32:33] // 
v_lshrrev_b32 v[vgprValuC+160], 16, v[vgprValuC+160] // convert C to bf16
v_cmp_u_f32 s[32:33], v[vgprValuC+161], v[vgprValuC+161] // check Nan
v_bfe_u32 v134, v[vgprValuC+161], 16, 1            // Non-Nan case: store lsb of bf16
v_add3_u32 v134, v[vgprValuC+161], v134, v137      // Non-Nan case: add lsb and the increment for rounding
v_cndmask_b32 v[vgprValuC+161], v134, v136, s[32:33] // 
v_and_or_b32 v160, v[vgprValuC+161], v135, v[vgprValuC+160] // pack two bf16 to dword
s_lshl_b32  s32, s[sgprStrideD1J], 1               // incToNextRow: Scale by BPE
	;; [unrolled: 20-line block ×7, first 2 shown]
s_add_u32  s[sgprSrdD+0], s[sgprSrdD+0], s32       // incToNextRow: gra SRD += inc(lower)
s_addc_u32  s[sgprSrdD+1], s[sgprSrdD+1], 0        // incToNextRow: gra SRD += inc(upper)
_buffer_store_b32 v174, v138, s[sgprSrdD:sgprSrdD+3], 0, offen, offset:0,  glc slc // store D

s_waitcnt vmcnt(27)                                // wait C (interleaved) 27 = 28 - 12 + 12 - 1
v_lshlrev_b32 v132, 16, v176                       // convert bf16 to fp32
_v_mac_f32 v[vgprValuC+178], v132, s[sgprBeta]     // finalSum = sum*alpha + C*beta
v_and_b32 v132, v176, v135                         // convert bf16 to fp32
_v_mac_f32 v[vgprValuC+179], v132, s[sgprBeta]     // finalSum = sum*alpha + C*beta
v_cmp_u_f32 s[32:33], v[vgprValuC+178], v[vgprValuC+178] // check Nan
v_bfe_u32 v134, v[vgprValuC+178], 16, 1            // Non-Nan case: store lsb of bf16
v_add3_u32 v134, v[vgprValuC+178], v134, v137      // Non-Nan case: add lsb and the increment for rounding
v_cndmask_b32 v[vgprValuC+178], v134, v136, s[32:33] // 
v_lshrrev_b32 v[vgprValuC+178], 16, v[vgprValuC+178] // convert C to bf16
v_cmp_u_f32 s[32:33], v[vgprValuC+179], v[vgprValuC+179] // check Nan
v_bfe_u32 v134, v[vgprValuC+179], 16, 1            // Non-Nan case: store lsb of bf16
v_add3_u32 v134, v[vgprValuC+179], v134, v137      // Non-Nan case: add lsb and the increment for rounding
v_cndmask_b32 v[vgprValuC+179], v134, v136, s[32:33] // 
v_and_or_b32 v178, v[vgprValuC+179], v135, v[vgprValuC+178] // pack two bf16 to dword
s_mul_i32 s32, s[sgprStrideD1J], 18                // scale StrideD *= numRows(9) * bpe
s_add_u32  s[sgprSrdD+0], s[sgprSrdD+0], s32       // incToNextRow: gra SRD += inc(lower)
s_addc_u32  s[sgprSrdD+1], s[sgprSrdD+1], 0        // incToNextRow: gra SRD += inc(upper)
_buffer_store_b32 v178, v138, s[sgprSrdD:sgprSrdD+3], 0, offen, offset:0,  glc slc // store D

s_waitcnt vmcnt(27)                                // wait C (interleaved) 27 = 28 - 13 + 13 - 1
v_lshlrev_b32 v132, 16, v177                       // convert bf16 to fp32
_v_mac_f32 v[vgprValuC+180], v132, s[sgprBeta]     // finalSum = sum*alpha + C*beta
v_and_b32 v132, v177, v135                         // convert bf16 to fp32
_v_mac_f32 v[vgprValuC+181], v132, s[sgprBeta]     // finalSum = sum*alpha + C*beta
v_cmp_u_f32 s[32:33], v[vgprValuC+180], v[vgprValuC+180] // check Nan
v_bfe_u32 v134, v[vgprValuC+180], 16, 1            // Non-Nan case: store lsb of bf16
v_add3_u32 v134, v[vgprValuC+180], v134, v137      // Non-Nan case: add lsb and the increment for rounding
v_cndmask_b32 v[vgprValuC+180], v134, v136, s[32:33] // 
v_lshrrev_b32 v[vgprValuC+180], 16, v[vgprValuC+180] // convert C to bf16
v_cmp_u_f32 s[32:33], v[vgprValuC+181], v[vgprValuC+181] // check Nan
v_bfe_u32 v134, v[vgprValuC+181], 16, 1            // Non-Nan case: store lsb of bf16
v_add3_u32 v134, v[vgprValuC+181], v134, v137      // Non-Nan case: add lsb and the increment for rounding
v_cndmask_b32 v[vgprValuC+181], v134, v136, s[32:33] // 
v_and_or_b32 v180, v[vgprValuC+181], v135, v[vgprValuC+180] // pack two bf16 to dword
s_lshl_b32  s32, s[sgprStrideD1J], 1               // incToNextRow: Scale by BPE
s_add_u32  s[sgprSrdD+0], s[sgprSrdD+0], s32       // incToNextRow: gra SRD += inc(lower)
s_addc_u32  s[sgprSrdD+1], s[sgprSrdD+1], 0        // incToNextRow: gra SRD += inc(upper)
_buffer_store_b32 v180, v138, s[sgprSrdD:sgprSrdD+3], 0, offen, offset:0,  glc slc // store D

s_waitcnt vmcnt(27)                                // wait C (interleaved) 27 = 28 - 14 + 14 - 1
v_lshlrev_b32 v132, 16, v182                       // convert bf16 to fp32
_v_mac_f32 v[vgprValuC+184], v132, s[sgprBeta]     // finalSum = sum*alpha + C*beta
v_and_b32 v132, v182, v135                         // convert bf16 to fp32
_v_mac_f32 v[vgprValuC+185], v132, s[sgprBeta]     // finalSum = sum*alpha + C*beta
v_cmp_u_f32 s[32:33], v[vgprValuC+184], v[vgprValuC+184] // check Nan
v_bfe_u32 v134, v[vgprValuC+184], 16, 1            // Non-Nan case: store lsb of bf16
v_add3_u32 v134, v[vgprValuC+184], v134, v137      // Non-Nan case: add lsb and the increment for rounding
v_cndmask_b32 v[vgprValuC+184], v134, v136, s[32:33] // 
v_lshrrev_b32 v[vgprValuC+184], 16, v[vgprValuC+184] // convert C to bf16
v_cmp_u_f32 s[32:33], v[vgprValuC+185], v[vgprValuC+185] // check Nan
v_bfe_u32 v134, v[vgprValuC+185], 16, 1            // Non-Nan case: store lsb of bf16
v_add3_u32 v134, v[vgprValuC+185], v134, v137      // Non-Nan case: add lsb and the increment for rounding
v_cndmask_b32 v[vgprValuC+185], v134, v136, s[32:33] // 
v_and_or_b32 v184, v[vgprValuC+185], v135, v[vgprValuC+184] // pack two bf16 to dword
s_lshl_b32  s32, s[sgprStrideD1J], 1               // incToNextRow: Scale by BPE
s_add_u32  s[sgprSrdD+0], s[sgprSrdD+0], s32       // incToNextRow: gra SRD += inc(lower)
s_addc_u32  s[sgprSrdD+1], s[sgprSrdD+1], 0        // incToNextRow: gra SRD += inc(upper)
_buffer_store_b32 v184, v138, s[sgprSrdD:sgprSrdD+3], 0, offen, offset:0,  glc slc // store D

s_waitcnt vmcnt(27)                                // wait C (interleaved) 27 = 28 - 15 + 15 - 1
v_lshlrev_b32 v132, 16, v183                       // convert bf16 to fp32
_v_mac_f32 v[vgprValuC+186], v132, s[sgprBeta]     // finalSum = sum*alpha + C*beta
v_and_b32 v132, v183, v135                         // convert bf16 to fp32
_v_mac_f32 v[vgprValuC+187], v132, s[sgprBeta]     // finalSum = sum*alpha + C*beta
v_cmp_u_f32 s[32:33], v[vgprValuC+186], v[vgprValuC+186] // check Nan
v_bfe_u32 v134, v[vgprValuC+186], 16, 1            // Non-Nan case: store lsb of bf16
v_add3_u32 v134, v[vgprValuC+186], v134, v137      // Non-Nan case: add lsb and the increment for rounding
v_cndmask_b32 v[vgprValuC+186], v134, v136, s[32:33] // 
v_lshrrev_b32 v[vgprValuC+186], 16, v[vgprValuC+186] // convert C to bf16
v_cmp_u_f32 s[32:33], v[vgprValuC+187], v[vgprValuC+187] // check Nan
v_bfe_u32 v134, v[vgprValuC+187], 16, 1            // Non-Nan case: store lsb of bf16
v_add3_u32 v134, v[vgprValuC+187], v134, v137      // Non-Nan case: add lsb and the increment for rounding
v_cndmask_b32 v[vgprValuC+187], v134, v136, s[32:33] // 
v_and_or_b32 v186, v[vgprValuC+187], v135, v[vgprValuC+186] // pack two bf16 to dword
s_lshl_b32  s32, s[sgprStrideD1J], 1               // incToNextRow: Scale by BPE
s_add_u32  s[sgprSrdD+0], s[sgprSrdD+0], s32       // incToNextRow: gra SRD += inc(lower)
s_addc_u32  s[sgprSrdD+1], s[sgprSrdD+1], 0        // incToNextRow: gra SRD += inc(upper)
_buffer_store_b32 v186, v138, s[sgprSrdD:sgprSrdD+3], 0, offen, offset:0,  glc slc // store D

s_waitcnt vmcnt(27)                                // wait C (interleaved) 27 = 28 - 16 + 16 - 1
v_lshlrev_b32 v132, 16, v188                       // convert bf16 to fp32
_v_mac_f32 v[vgprValuC+190], v132, s[sgprBeta]     // finalSum = sum*alpha + C*beta
v_and_b32 v132, v188, v135                         // convert bf16 to fp32
_v_mac_f32 v[vgprValuC+191], v132, s[sgprBeta]     // finalSum = sum*alpha + C*beta
v_cmp_u_f32 s[32:33], v[vgprValuC+190], v[vgprValuC+190] // check Nan
v_bfe_u32 v134, v[vgprValuC+190], 16, 1            // Non-Nan case: store lsb of bf16
v_add3_u32 v134, v[vgprValuC+190], v134, v137      // Non-Nan case: add lsb and the increment for rounding
v_cndmask_b32 v[vgprValuC+190], v134, v136, s[32:33] // 
v_lshrrev_b32 v[vgprValuC+190], 16, v[vgprValuC+190] // convert C to bf16
v_cmp_u_f32 s[32:33], v[vgprValuC+191], v[vgprValuC+191] // check Nan
v_bfe_u32 v134, v[vgprValuC+191], 16, 1            // Non-Nan case: store lsb of bf16
v_add3_u32 v134, v[vgprValuC+191], v134, v137      // Non-Nan case: add lsb and the increment for rounding
v_cndmask_b32 v[vgprValuC+191], v134, v136, s[32:33] // 
v_and_or_b32 v190, v[vgprValuC+191], v135, v[vgprValuC+190] // pack two bf16 to dword
s_lshl_b32  s32, s[sgprStrideD1J], 1               // incToNextRow: Scale by BPE
s_add_u32  s[sgprSrdD+0], s[sgprSrdD+0], s32       // incToNextRow: gra SRD += inc(lower)
s_addc_u32  s[sgprSrdD+1], s[sgprSrdD+1], 0        // incToNextRow: gra SRD += inc(upper)
_buffer_store_b32 v190, v138, s[sgprSrdD:sgprSrdD+3], 0, offen, offset:0,  glc slc // store D

s_waitcnt vmcnt(27)                                // wait C (interleaved) 27 = 28 - 17 + 17 - 1
v_lshlrev_b32 v132, 16, v189                       // convert bf16 to fp32
_v_mac_f32 v[vgprValuC+192], v132, s[sgprBeta]     // finalSum = sum*alpha + C*beta
v_and_b32 v132, v189, v135                         // convert bf16 to fp32
_v_mac_f32 v[vgprValuC+193], v132, s[sgprBeta]     // finalSum = sum*alpha + C*beta
v_cmp_u_f32 s[32:33], v[vgprValuC+192], v[vgprValuC+192] // check Nan
v_bfe_u32 v134, v[vgprValuC+192], 16, 1            // Non-Nan case: store lsb of bf16
v_add3_u32 v134, v[vgprValuC+192], v134, v137      // Non-Nan case: add lsb and the increment for rounding
v_cndmask_b32 v[vgprValuC+192], v134, v136, s[32:33] // 
v_lshrrev_b32 v[vgprValuC+192], 16, v[vgprValuC+192] // convert C to bf16
v_cmp_u_f32 s[32:33], v[vgprValuC+193], v[vgprValuC+193] // check Nan
v_bfe_u32 v134, v[vgprValuC+193], 16, 1            // Non-Nan case: store lsb of bf16
v_add3_u32 v134, v[vgprValuC+193], v134, v137      // Non-Nan case: add lsb and the increment for rounding
v_cndmask_b32 v[vgprValuC+193], v134, v136, s[32:33] // 
v_and_or_b32 v192, v[vgprValuC+193], v135, v[vgprValuC+192] // pack two bf16 to dword
s_lshl_b32  s32, s[sgprStrideD1J], 1               // incToNextRow: Scale by BPE
s_add_u32  s[sgprSrdD+0], s[sgprSrdD+0], s32       // incToNextRow: gra SRD += inc(lower)
s_addc_u32  s[sgprSrdD+1], s[sgprSrdD+1], 0        // incToNextRow: gra SRD += inc(upper)
_buffer_store_b32 v192, v138, s[sgprSrdD:sgprSrdD+3], 0, offen, offset:0,  glc slc // store D

s_waitcnt vmcnt(27)                                // wait C (interleaved) 27 = 28 - 18 + 18 - 1
v_lshlrev_b32 v132, 16, v194                       // convert bf16 to fp32
_v_mac_f32 v[vgprValuC+196], v132, s[sgprBeta]     // finalSum = sum*alpha + C*beta
v_and_b32 v132, v194, v135                         // convert bf16 to fp32
_v_mac_f32 v[vgprValuC+197], v132, s[sgprBeta]     // finalSum = sum*alpha + C*beta
v_cmp_u_f32 s[32:33], v[vgprValuC+196], v[vgprValuC+196] // check Nan
v_bfe_u32 v134, v[vgprValuC+196], 16, 1            // Non-Nan case: store lsb of bf16
v_add3_u32 v134, v[vgprValuC+196], v134, v137      // Non-Nan case: add lsb and the increment for rounding
v_cndmask_b32 v[vgprValuC+196], v134, v136, s[32:33] // 
v_lshrrev_b32 v[vgprValuC+196], 16, v[vgprValuC+196] // convert C to bf16
v_cmp_u_f32 s[32:33], v[vgprValuC+197], v[vgprValuC+197] // check Nan
v_bfe_u32 v134, v[vgprValuC+197], 16, 1            // Non-Nan case: store lsb of bf16
v_add3_u32 v134, v[vgprValuC+197], v134, v137      // Non-Nan case: add lsb and the increment for rounding
v_cndmask_b32 v[vgprValuC+197], v134, v136, s[32:33] // 
v_and_or_b32 v196, v[vgprValuC+197], v135, v[vgprValuC+196] // pack two bf16 to dword
s_lshl_b32  s32, s[sgprStrideD1J], 1               // incToNextRow: Scale by BPE
s_add_u32  s[sgprSrdD+0], s[sgprSrdD+0], s32       // incToNextRow: gra SRD += inc(lower)
s_addc_u32  s[sgprSrdD+1], s[sgprSrdD+1], 0        // incToNextRow: gra SRD += inc(upper)
_buffer_store_b32 v196, v138, s[sgprSrdD:sgprSrdD+3], 0, offen, offset:0,  glc slc // store D

s_waitcnt vmcnt(27)                                // wait C (interleaved) 27 = 28 - 19 + 19 - 1
v_lshlrev_b32 v132, 16, v195                       // convert bf16 to fp32
_v_mac_f32 v[vgprValuC+198], v132, s[sgprBeta]     // finalSum = sum*alpha + C*beta
v_and_b32 v132, v195, v135                         // convert bf16 to fp32
_v_mac_f32 v[vgprValuC+199], v132, s[sgprBeta]     // finalSum = sum*alpha + C*beta
v_cmp_u_f32 s[32:33], v[vgprValuC+198], v[vgprValuC+198] // check Nan
v_bfe_u32 v134, v[vgprValuC+198], 16, 1            // Non-Nan case: store lsb of bf16
v_add3_u32 v134, v[vgprValuC+198], v134, v137      // Non-Nan case: add lsb and the increment for rounding
v_cndmask_b32 v[vgprValuC+198], v134, v136, s[32:33] // 
v_lshrrev_b32 v[vgprValuC+198], 16, v[vgprValuC+198] // convert C to bf16
v_cmp_u_f32 s[32:33], v[vgprValuC+199], v[vgprValuC+199] // check Nan
v_bfe_u32 v134, v[vgprValuC+199], 16, 1            // Non-Nan case: store lsb of bf16
v_add3_u32 v134, v[vgprValuC+199], v134, v137      // Non-Nan case: add lsb and the increment for rounding
v_cndmask_b32 v[vgprValuC+199], v134, v136, s[32:33] // 
v_and_or_b32 v198, v[vgprValuC+199], v135, v[vgprValuC+198] // pack two bf16 to dword
s_lshl_b32  s32, s[sgprStrideD1J], 1               // incToNextRow: Scale by BPE
s_add_u32  s[sgprSrdD+0], s[sgprSrdD+0], s32       // incToNextRow: gra SRD += inc(lower)
s_addc_u32  s[sgprSrdD+1], s[sgprSrdD+1], 0        // incToNextRow: gra SRD += inc(upper)
_buffer_store_b32 v198, v138, s[sgprSrdD:sgprSrdD+3], 0, offen, offset:0,  glc slc // store D

s_waitcnt vmcnt(27)                                // wait C (interleaved) 27 = 28 - 20 + 20 - 1
v_lshlrev_b32 v132, 16, v200                       // convert bf16 to fp32
_v_mac_f32 v[vgprValuC+202], v132, s[sgprBeta]     // finalSum = sum*alpha + C*beta
v_and_b32 v132, v200, v135                         // convert bf16 to fp32
_v_mac_f32 v[vgprValuC+203], v132, s[sgprBeta]     // finalSum = sum*alpha + C*beta
v_cmp_u_f32 s[32:33], v[vgprValuC+202], v[vgprValuC+202] // check Nan
v_bfe_u32 v134, v[vgprValuC+202], 16, 1            // Non-Nan case: store lsb of bf16
v_add3_u32 v134, v[vgprValuC+202], v134, v137      // Non-Nan case: add lsb and the increment for rounding
v_cndmask_b32 v[vgprValuC+202], v134, v136, s[32:33] // 
v_lshrrev_b32 v[vgprValuC+202], 16, v[vgprValuC+202] // convert C to bf16
v_cmp_u_f32 s[32:33], v[vgprValuC+203], v[vgprValuC+203] // check Nan
v_bfe_u32 v134, v[vgprValuC+203], 16, 1            // Non-Nan case: store lsb of bf16
v_add3_u32 v134, v[vgprValuC+203], v134, v137      // Non-Nan case: add lsb and the increment for rounding
v_cndmask_b32 v[vgprValuC+203], v134, v136, s[32:33] // 
v_and_or_b32 v202, v[vgprValuC+203], v135, v[vgprValuC+202] // pack two bf16 to dword
s_mul_i32 s32, s[sgprStrideD1J], 18                // scale StrideD *= numRows(9) * bpe
s_add_u32  s[sgprSrdD+0], s[sgprSrdD+0], s32       // incToNextRow: gra SRD += inc(lower)
s_addc_u32  s[sgprSrdD+1], s[sgprSrdD+1], 0        // incToNextRow: gra SRD += inc(upper)
_buffer_store_b32 v202, v138, s[sgprSrdD:sgprSrdD+3], 0, offen, offset:0,  glc slc // store D

s_waitcnt vmcnt(27)                                // wait C (interleaved) 27 = 28 - 21 + 21 - 1
v_lshlrev_b32 v132, 16, v201                       // convert bf16 to fp32
_v_mac_f32 v[vgprValuC+204], v132, s[sgprBeta]     // finalSum = sum*alpha + C*beta
v_and_b32 v132, v201, v135                         // convert bf16 to fp32
_v_mac_f32 v[vgprValuC+205], v132, s[sgprBeta]     // finalSum = sum*alpha + C*beta
v_cmp_u_f32 s[32:33], v[vgprValuC+204], v[vgprValuC+204] // check Nan
v_bfe_u32 v134, v[vgprValuC+204], 16, 1            // Non-Nan case: store lsb of bf16
v_add3_u32 v134, v[vgprValuC+204], v134, v137      // Non-Nan case: add lsb and the increment for rounding
v_cndmask_b32 v[vgprValuC+204], v134, v136, s[32:33] // 
v_lshrrev_b32 v[vgprValuC+204], 16, v[vgprValuC+204] // convert C to bf16
v_cmp_u_f32 s[32:33], v[vgprValuC+205], v[vgprValuC+205] // check Nan
v_bfe_u32 v134, v[vgprValuC+205], 16, 1            // Non-Nan case: store lsb of bf16
v_add3_u32 v134, v[vgprValuC+205], v134, v137      // Non-Nan case: add lsb and the increment for rounding
v_cndmask_b32 v[vgprValuC+205], v134, v136, s[32:33] // 
v_and_or_b32 v204, v[vgprValuC+205], v135, v[vgprValuC+204] // pack two bf16 to dword
s_lshl_b32  s32, s[sgprStrideD1J], 1               // incToNextRow: Scale by BPE
s_add_u32  s[sgprSrdD+0], s[sgprSrdD+0], s32       // incToNextRow: gra SRD += inc(lower)
s_addc_u32  s[sgprSrdD+1], s[sgprSrdD+1], 0        // incToNextRow: gra SRD += inc(upper)
_buffer_store_b32 v204, v138, s[sgprSrdD:sgprSrdD+3], 0, offen, offset:0,  glc slc // store D

s_waitcnt vmcnt(27)                                // wait C (interleaved) 27 = 28 - 22 + 22 - 1
v_lshlrev_b32 v132, 16, v206                       // convert bf16 to fp32
_v_mac_f32 v[vgprValuC+212], v132, s[sgprBeta]     // finalSum = sum*alpha + C*beta
v_and_b32 v132, v206, v135                         // convert bf16 to fp32
_v_mac_f32 v[vgprValuC+213], v132, s[sgprBeta]     // finalSum = sum*alpha + C*beta
v_cmp_u_f32 s[32:33], v[vgprValuC+212], v[vgprValuC+212] // check Nan
v_bfe_u32 v134, v[vgprValuC+212], 16, 1            // Non-Nan case: store lsb of bf16
v_add3_u32 v134, v[vgprValuC+212], v134, v137      // Non-Nan case: add lsb and the increment for rounding
v_cndmask_b32 v[vgprValuC+212], v134, v136, s[32:33] // 
v_lshrrev_b32 v[vgprValuC+212], 16, v[vgprValuC+212] // convert C to bf16
v_cmp_u_f32 s[32:33], v[vgprValuC+213], v[vgprValuC+213] // check Nan
v_bfe_u32 v134, v[vgprValuC+213], 16, 1            // Non-Nan case: store lsb of bf16
v_add3_u32 v134, v[vgprValuC+213], v134, v137      // Non-Nan case: add lsb and the increment for rounding
v_cndmask_b32 v[vgprValuC+213], v134, v136, s[32:33] // 
v_and_or_b32 v212, v[vgprValuC+213], v135, v[vgprValuC+212] // pack two bf16 to dword
s_lshl_b32  s32, s[sgprStrideD1J], 1               // incToNextRow: Scale by BPE
	;; [unrolled: 20-line block ×7, first 2 shown]
s_add_u32  s[sgprSrdD+0], s[sgprSrdD+0], s32       // incToNextRow: gra SRD += inc(lower)
s_addc_u32  s[sgprSrdD+1], s[sgprSrdD+1], 0        // incToNextRow: gra SRD += inc(upper)
_buffer_store_b32 v226, v138, s[sgprSrdD:sgprSrdD+3], 0, offen, offset:0,  glc slc // store D
s_nop 0                                            // 1 wait state required when next inst writes vgprs held by previous dwordx4 store inst
s_branch label_GW_End_202                          // jump to end
GW_B1_E1_201:

/* edge=1, allocate 6 sgpr. perBatchTmpS=4 perBatchMaskS=2 perElementMaskS=0 elementsPerBatch=38 */
/* optSingleColVgpr=0 optSharedColVgpr=0 optSGPRUsage=BufferLoad_Edge_Mask optSrdIncForRow=0 */

/******************************************/
/* Global Write Alpha Beta Edge Batch #0 (d1,d0,vc1,vc0) = */
/*    (0,0,0,0:vw1); (0,0,0,1:vw1); (0,0,1,0:vw1); (0,0,1,1:vw1); (0,0,2,0:vw1); (0,0,2,1:vw1); (0,0,3,0:vw1); (0,0,3,1:vw1); (0,0,4,0:vw1); (0,0,4,1:vw1); (0,0,5,0:vw1); (0,0,5,1:vw1); (0,0,6,0:vw1); (0,0,6,1:vw1); (0,0,7,0:vw1); (0,0,7,1:vw1); (1,0,0,0:vw1); (1,0,0,1:vw1); (1,0,1,0:vw1); (1,0,1,1:vw1); (1,0,2,0:vw1); (1,0,2,1:vw1); (1,0,3,0:vw1); (1,0,3,1:vw1); (1,0,4,0:vw1); (1,0,4,1:vw1); (1,0,5,0:vw1); (1,0,5,1:vw1); (1,0,6,0:vw1); (1,0,6,1:vw1); (1,0,7,0:vw1); (1,0,7,1:vw1); (2,0,0,0:vw1); (2,0,0,1:vw1); (2,0,1,0:vw1); (2,0,1,1:vw1); (2,0,2,0:vw1); (2,0,2,1:vw1) */
/******************************************/

/* calc coords, apply mask, and issue loads (if necessary) */
/* (d1,vc1,d0,vc0)=(0,0,0,0) */
v_cmp_lt_u32 s[52:53], v128, s[sgprSizeI]          // coord0 < size0
v_cmp_lt_u32 s[56:57], v129, s[sgprSizeJ]          // coord1 < size1
s_and_b64 s[56:57], s[52:53], s[56:57]             // in0 && in1
_v_add_lshl_u32 v138, v130, v128, 0x1              // scaleToBpe: accumulate d0 lower and *= bpe into Cin addr
v_cndmask_b32 v138, -1, v138, s[56:57]             // LDC clip if OOB. offset
_buffer_load_d16_b16 v139, v138, s[sgprSrdC:sgprSrdC+3], 0, offen offset:0,  glc slc // load C for beta calc
_v_add_lshl_u32 v138, v131, v128, 0x1              // scaleToBpe: accumulate d0 lower and *= bpe into Cin addr
v_cndmask_b32 v138, -1, v138, s[56:57]             // LDD clip if OOB. offset
/* (d1,vc1,d0,vc0)=(0,0,0,1) */
_v_add_co_u32 v132, vcc, v128, 1                   // coord0.1: coord0 += d0*sg0*VW + vc0
v_cmp_lt_u32 s[52:53], v132, s[sgprSizeI]          // coord0 < size0
v_cmp_lt_u32 s[56:57], v129, s[sgprSizeJ]          // coord1 < size1
s_and_b64 s[56:57], s[52:53], s[56:57]             // in0 && in1
_v_add_lshl_u32 v141, v130, v132, 0x1              // scaleToBpe: accumulate d0 lower and *= bpe into Cin addr
v_cndmask_b32 v141, -1, v141, s[56:57]             // LDC clip if OOB. offset
_buffer_load_d16_b16 v142, v141, s[sgprSrdC:sgprSrdC+3], 0, offen offset:0,  glc slc // load C for beta calc
_v_add_lshl_u32 v141, v131, v132, 0x1              // scaleToBpe: accumulate d0 lower and *= bpe into Cin addr
v_cndmask_b32 v141, -1, v141, s[56:57]             // LDD clip if OOB. offset
/* (d1,vc1,d0,vc0)=(0,1,0,0) */
_v_add_co_u32 v129, vcc, v129, 1                   // coord1.1: coord1Vgpr += d1*sg1*VW + vc1

/* Fix for UseInitialStridesCD, emitAddressSetupCode */
_v_add_u32 v130, v130, s[sgprStrideC1J]            // ROWINC- Move cinRowPtr to next row
_v_add_u32 v131, v131, s[sgprStrideD1J]            // Move coutRowPtr to next row
v_cmp_lt_u32 s[52:53], v128, s[sgprSizeI]          // coord0 < size0
v_cmp_lt_u32 s[56:57], v129, s[sgprSizeJ]          // coord1 < size1
s_and_b64 s[56:57], s[52:53], s[56:57]             // in0 && in1
_v_add_lshl_u32 v144, v130, v128, 0x1              // scaleToBpe: accumulate d0 lower and *= bpe into Cin addr
v_cndmask_b32 v144, -1, v144, s[56:57]             // LDC clip if OOB. offset
_buffer_load_d16_b16 v145, v144, s[sgprSrdC:sgprSrdC+3], 0, offen offset:0,  glc slc // load C for beta calc
_v_add_lshl_u32 v144, v131, v128, 0x1              // scaleToBpe: accumulate d0 lower and *= bpe into Cin addr
v_cndmask_b32 v144, -1, v144, s[56:57]             // LDD clip if OOB. offset
/* (d1,vc1,d0,vc0)=(0,1,0,1) */
_v_add_co_u32 v132, vcc, v128, 1                   // coord0.1: coord0 += d0*sg0*VW + vc0
v_cmp_lt_u32 s[52:53], v132, s[sgprSizeI]          // coord0 < size0
v_cmp_lt_u32 s[56:57], v129, s[sgprSizeJ]          // coord1 < size1
s_and_b64 s[56:57], s[52:53], s[56:57]             // in0 && in1
_v_add_lshl_u32 v147, v130, v132, 0x1              // scaleToBpe: accumulate d0 lower and *= bpe into Cin addr
v_cndmask_b32 v147, -1, v147, s[56:57]             // LDC clip if OOB. offset
_buffer_load_d16_b16 v148, v147, s[sgprSrdC:sgprSrdC+3], 0, offen offset:0,  glc slc // load C for beta calc
_v_add_lshl_u32 v147, v131, v132, 0x1              // scaleToBpe: accumulate d0 lower and *= bpe into Cin addr
v_cndmask_b32 v147, -1, v147, s[56:57]             // LDD clip if OOB. offset
/* (d1,vc1,d0,vc0)=(0,2,0,0) */
_v_add_co_u32 v129, vcc, v129, 1                   // coord1.1: coord1Vgpr += d1*sg1*VW + vc1

/* Fix for UseInitialStridesCD, emitAddressSetupCode */
_v_add_u32 v130, v130, s[sgprStrideC1J]            // ROWINC- Move cinRowPtr to next row
_v_add_u32 v131, v131, s[sgprStrideD1J]            // Move coutRowPtr to next row
	;; [unrolled: 24-line block ×7, first 2 shown]
v_cmp_lt_u32 s[52:53], v128, s[sgprSizeI]          // coord0 < size0
v_cmp_lt_u32 s[56:57], v129, s[sgprSizeJ]          // coord1 < size1
s_and_b64 s[56:57], s[52:53], s[56:57]             // in0 && in1
_v_add_lshl_u32 v180, v130, v128, 0x1              // scaleToBpe: accumulate d0 lower and *= bpe into Cin addr
v_cndmask_b32 v180, -1, v180, s[56:57]             // LDC clip if OOB. offset
_buffer_load_d16_b16 v181, v180, s[sgprSrdC:sgprSrdC+3], 0, offen offset:0,  glc slc // load C for beta calc
_v_add_lshl_u32 v180, v131, v128, 0x1              // scaleToBpe: accumulate d0 lower and *= bpe into Cin addr
v_cndmask_b32 v180, -1, v180, s[56:57]             // LDD clip if OOB. offset
/* (d1,vc1,d0,vc0)=(0,7,0,1) */
_v_add_co_u32 v132, vcc, v128, 1                   // coord0.1: coord0 += d0*sg0*VW + vc0
v_cmp_lt_u32 s[52:53], v132, s[sgprSizeI]          // coord0 < size0
v_cmp_lt_u32 s[56:57], v129, s[sgprSizeJ]          // coord1 < size1
s_and_b64 s[56:57], s[52:53], s[56:57]             // in0 && in1
_v_add_lshl_u32 v183, v130, v132, 0x1              // scaleToBpe: accumulate d0 lower and *= bpe into Cin addr
v_cndmask_b32 v183, -1, v183, s[56:57]             // LDC clip if OOB. offset
_buffer_load_d16_b16 v184, v183, s[sgprSrdC:sgprSrdC+3], 0, offen offset:0,  glc slc // load C for beta calc
_v_add_lshl_u32 v183, v131, v132, 0x1              // scaleToBpe: accumulate d0 lower and *= bpe into Cin addr
v_cndmask_b32 v183, -1, v183, s[56:57]             // LDD clip if OOB. offset
/* (d1,vc1,d0,vc0)=(1,0,0,0) */
_v_add_co_u32 v129, vcc, v129, 9                   // coord1.1: coord1Vgpr += d1*sg1*VW + vc1

/* Fix for UseInitialStridesCD, emitAddressSetupCode */
s_mul_i32 s52, s[sgprStrideC1J], 9                 // scale stride
_v_add_u32 v130, v130, s52                         // ROWINC- Move cinRowPtr to next row
s_mul_i32 s52, s[sgprStrideD1J], 9                 // scale stride
_v_add_u32 v131, v131, s52                         // Move coutRowPtr to next row
v_cmp_lt_u32 s[52:53], v128, s[sgprSizeI]          // coord0 < size0
v_cmp_lt_u32 s[56:57], v129, s[sgprSizeJ]          // coord1 < size1
s_and_b64 s[56:57], s[52:53], s[56:57]             // in0 && in1
_v_add_lshl_u32 v186, v130, v128, 0x1              // scaleToBpe: accumulate d0 lower and *= bpe into Cin addr
v_cndmask_b32 v186, -1, v186, s[56:57]             // LDC clip if OOB. offset
_buffer_load_d16_b16 v187, v186, s[sgprSrdC:sgprSrdC+3], 0, offen offset:0,  glc slc // load C for beta calc
_v_add_lshl_u32 v186, v131, v128, 0x1              // scaleToBpe: accumulate d0 lower and *= bpe into Cin addr
v_cndmask_b32 v186, -1, v186, s[56:57]             // LDD clip if OOB. offset
/* (d1,vc1,d0,vc0)=(1,0,0,1) */
_v_add_co_u32 v132, vcc, v128, 1                   // coord0.1: coord0 += d0*sg0*VW + vc0
v_cmp_lt_u32 s[52:53], v132, s[sgprSizeI]          // coord0 < size0
v_cmp_lt_u32 s[56:57], v129, s[sgprSizeJ]          // coord1 < size1
s_and_b64 s[56:57], s[52:53], s[56:57]             // in0 && in1
_v_add_lshl_u32 v189, v130, v132, 0x1              // scaleToBpe: accumulate d0 lower and *= bpe into Cin addr
v_cndmask_b32 v189, -1, v189, s[56:57]             // LDC clip if OOB. offset
_buffer_load_d16_b16 v190, v189, s[sgprSrdC:sgprSrdC+3], 0, offen offset:0,  glc slc // load C for beta calc
_v_add_lshl_u32 v189, v131, v132, 0x1              // scaleToBpe: accumulate d0 lower and *= bpe into Cin addr
v_cndmask_b32 v189, -1, v189, s[56:57]             // LDD clip if OOB. offset
/* (d1,vc1,d0,vc0)=(1,1,0,0) */
_v_add_co_u32 v129, vcc, v129, 1                   // coord1.1: coord1Vgpr += d1*sg1*VW + vc1

/* Fix for UseInitialStridesCD, emitAddressSetupCode */
_v_add_u32 v130, v130, s[sgprStrideC1J]            // ROWINC- Move cinRowPtr to next row
_v_add_u32 v131, v131, s[sgprStrideD1J]            // Move coutRowPtr to next row
v_cmp_lt_u32 s[52:53], v128, s[sgprSizeI]          // coord0 < size0
v_cmp_lt_u32 s[56:57], v129, s[sgprSizeJ]          // coord1 < size1
s_and_b64 s[56:57], s[52:53], s[56:57]             // in0 && in1
_v_add_lshl_u32 v192, v130, v128, 0x1              // scaleToBpe: accumulate d0 lower and *= bpe into Cin addr
v_cndmask_b32 v192, -1, v192, s[56:57]             // LDC clip if OOB. offset
_buffer_load_d16_b16 v193, v192, s[sgprSrdC:sgprSrdC+3], 0, offen offset:0,  glc slc // load C for beta calc
_v_add_lshl_u32 v192, v131, v128, 0x1              // scaleToBpe: accumulate d0 lower and *= bpe into Cin addr
v_cndmask_b32 v192, -1, v192, s[56:57]             // LDD clip if OOB. offset
/* (d1,vc1,d0,vc0)=(1,1,0,1) */
_v_add_co_u32 v132, vcc, v128, 1                   // coord0.1: coord0 += d0*sg0*VW + vc0
v_cmp_lt_u32 s[52:53], v132, s[sgprSizeI]          // coord0 < size0
v_cmp_lt_u32 s[56:57], v129, s[sgprSizeJ]          // coord1 < size1
s_and_b64 s[56:57], s[52:53], s[56:57]             // in0 && in1
_v_add_lshl_u32 v195, v130, v132, 0x1              // scaleToBpe: accumulate d0 lower and *= bpe into Cin addr
v_cndmask_b32 v195, -1, v195, s[56:57]             // LDC clip if OOB. offset
_buffer_load_d16_b16 v196, v195, s[sgprSrdC:sgprSrdC+3], 0, offen offset:0,  glc slc // load C for beta calc
_v_add_lshl_u32 v195, v131, v132, 0x1              // scaleToBpe: accumulate d0 lower and *= bpe into Cin addr
v_cndmask_b32 v195, -1, v195, s[56:57]             // LDD clip if OOB. offset
/* (d1,vc1,d0,vc0)=(1,2,0,0) */
_v_add_co_u32 v129, vcc, v129, 1                   // coord1.1: coord1Vgpr += d1*sg1*VW + vc1

/* Fix for UseInitialStridesCD, emitAddressSetupCode */
_v_add_u32 v130, v130, s[sgprStrideC1J]            // ROWINC- Move cinRowPtr to next row
_v_add_u32 v131, v131, s[sgprStrideD1J]            // Move coutRowPtr to next row
	;; [unrolled: 24-line block ×7, first 2 shown]
v_cmp_lt_u32 s[52:53], v128, s[sgprSizeI]          // coord0 < size0
v_cmp_lt_u32 s[56:57], v129, s[sgprSizeJ]          // coord1 < size1
s_and_b64 s[56:57], s[52:53], s[56:57]             // in0 && in1
_v_add_lshl_u32 v231, v130, v128, 0x1              // scaleToBpe: accumulate d0 lower and *= bpe into Cin addr
v_cndmask_b32 v231, -1, v231, s[56:57]             // LDC clip if OOB. offset
_buffer_load_d16_b16 v232, v231, s[sgprSrdC:sgprSrdC+3], 0, offen offset:0,  glc slc // load C for beta calc
_v_add_lshl_u32 v231, v131, v128, 0x1              // scaleToBpe: accumulate d0 lower and *= bpe into Cin addr
v_cndmask_b32 v231, -1, v231, s[56:57]             // LDD clip if OOB. offset
/* (d1,vc1,d0,vc0)=(1,7,0,1) */
_v_add_co_u32 v132, vcc, v128, 1                   // coord0.1: coord0 += d0*sg0*VW + vc0
v_cmp_lt_u32 s[52:53], v132, s[sgprSizeI]          // coord0 < size0
v_cmp_lt_u32 s[56:57], v129, s[sgprSizeJ]          // coord1 < size1
s_and_b64 s[56:57], s[52:53], s[56:57]             // in0 && in1
_v_add_lshl_u32 v234, v130, v132, 0x1              // scaleToBpe: accumulate d0 lower and *= bpe into Cin addr
v_cndmask_b32 v234, -1, v234, s[56:57]             // LDC clip if OOB. offset
_buffer_load_d16_b16 v235, v234, s[sgprSrdC:sgprSrdC+3], 0, offen offset:0,  glc slc // load C for beta calc
_v_add_lshl_u32 v234, v131, v132, 0x1              // scaleToBpe: accumulate d0 lower and *= bpe into Cin addr
v_cndmask_b32 v234, -1, v234, s[56:57]             // LDD clip if OOB. offset
/* (d1,vc1,d0,vc0)=(2,0,0,0) */
_v_add_co_u32 v129, vcc, v129, 9                   // coord1.1: coord1Vgpr += d1*sg1*VW + vc1

/* Fix for UseInitialStridesCD, emitAddressSetupCode */
s_mul_i32 s52, s[sgprStrideC1J], 9                 // scale stride
_v_add_u32 v130, v130, s52                         // ROWINC- Move cinRowPtr to next row
s_mul_i32 s52, s[sgprStrideD1J], 9                 // scale stride
_v_add_u32 v131, v131, s52                         // Move coutRowPtr to next row
v_cmp_lt_u32 s[52:53], v128, s[sgprSizeI]          // coord0 < size0
v_cmp_lt_u32 s[56:57], v129, s[sgprSizeJ]          // coord1 < size1
s_and_b64 s[56:57], s[52:53], s[56:57]             // in0 && in1
_v_add_lshl_u32 v237, v130, v128, 0x1              // scaleToBpe: accumulate d0 lower and *= bpe into Cin addr
v_cndmask_b32 v237, -1, v237, s[56:57]             // LDC clip if OOB. offset
_buffer_load_d16_b16 v238, v237, s[sgprSrdC:sgprSrdC+3], 0, offen offset:0,  glc slc // load C for beta calc
_v_add_lshl_u32 v237, v131, v128, 0x1              // scaleToBpe: accumulate d0 lower and *= bpe into Cin addr
v_cndmask_b32 v237, -1, v237, s[56:57]             // LDD clip if OOB. offset
/* (d1,vc1,d0,vc0)=(2,0,0,1) */
_v_add_co_u32 v132, vcc, v128, 1                   // coord0.1: coord0 += d0*sg0*VW + vc0
v_cmp_lt_u32 s[52:53], v132, s[sgprSizeI]          // coord0 < size0
v_cmp_lt_u32 s[56:57], v129, s[sgprSizeJ]          // coord1 < size1
s_and_b64 s[56:57], s[52:53], s[56:57]             // in0 && in1
_v_add_lshl_u32 v240, v130, v132, 0x1              // scaleToBpe: accumulate d0 lower and *= bpe into Cin addr
v_cndmask_b32 v240, -1, v240, s[56:57]             // LDC clip if OOB. offset
_buffer_load_d16_b16 v241, v240, s[sgprSrdC:sgprSrdC+3], 0, offen offset:0,  glc slc // load C for beta calc
_v_add_lshl_u32 v240, v131, v132, 0x1              // scaleToBpe: accumulate d0 lower and *= bpe into Cin addr
v_cndmask_b32 v240, -1, v240, s[56:57]             // LDD clip if OOB. offset
/* (d1,vc1,d0,vc0)=(2,1,0,0) */
_v_add_co_u32 v129, vcc, v129, 1                   // coord1.1: coord1Vgpr += d1*sg1*VW + vc1

/* Fix for UseInitialStridesCD, emitAddressSetupCode */
_v_add_u32 v130, v130, s[sgprStrideC1J]            // ROWINC- Move cinRowPtr to next row
_v_add_u32 v131, v131, s[sgprStrideD1J]            // Move coutRowPtr to next row
v_cmp_lt_u32 s[52:53], v128, s[sgprSizeI]          // coord0 < size0
v_cmp_lt_u32 s[56:57], v129, s[sgprSizeJ]          // coord1 < size1
s_and_b64 s[56:57], s[52:53], s[56:57]             // in0 && in1
_v_add_lshl_u32 v243, v130, v128, 0x1              // scaleToBpe: accumulate d0 lower and *= bpe into Cin addr
v_cndmask_b32 v243, -1, v243, s[56:57]             // LDC clip if OOB. offset
_buffer_load_d16_b16 v244, v243, s[sgprSrdC:sgprSrdC+3], 0, offen offset:0,  glc slc // load C for beta calc
_v_add_lshl_u32 v243, v131, v128, 0x1              // scaleToBpe: accumulate d0 lower and *= bpe into Cin addr
v_cndmask_b32 v243, -1, v243, s[56:57]             // LDD clip if OOB. offset
/* (d1,vc1,d0,vc0)=(2,1,0,1) */
_v_add_co_u32 v132, vcc, v128, 1                   // coord0.1: coord0 += d0*sg0*VW + vc0
v_cmp_lt_u32 s[52:53], v132, s[sgprSizeI]          // coord0 < size0
v_cmp_lt_u32 s[56:57], v129, s[sgprSizeJ]          // coord1 < size1
s_and_b64 s[56:57], s[52:53], s[56:57]             // in0 && in1
_v_add_lshl_u32 v246, v130, v132, 0x1              // scaleToBpe: accumulate d0 lower and *= bpe into Cin addr
v_cndmask_b32 v246, -1, v246, s[56:57]             // LDC clip if OOB. offset
_buffer_load_d16_b16 v247, v246, s[sgprSrdC:sgprSrdC+3], 0, offen offset:0,  glc slc // load C for beta calc
_v_add_lshl_u32 v246, v131, v132, 0x1              // scaleToBpe: accumulate d0 lower and *= bpe into Cin addr
v_cndmask_b32 v246, -1, v246, s[56:57]             // LDD clip if OOB. offset
/* (d1,vc1,d0,vc0)=(2,2,0,0) */
_v_add_co_u32 v129, vcc, v129, 1                   // coord1.1: coord1Vgpr += d1*sg1*VW + vc1

/* Fix for UseInitialStridesCD, emitAddressSetupCode */
_v_add_u32 v130, v130, s[sgprStrideC1J]            // ROWINC- Move cinRowPtr to next row
_v_add_u32 v131, v131, s[sgprStrideD1J]            // Move coutRowPtr to next row
v_cmp_lt_u32 s[52:53], v128, s[sgprSizeI]          // coord0 < size0
v_cmp_lt_u32 s[56:57], v129, s[sgprSizeJ]          // coord1 < size1
s_and_b64 s[56:57], s[52:53], s[56:57]             // in0 && in1
_v_add_lshl_u32 v249, v130, v128, 0x1              // scaleToBpe: accumulate d0 lower and *= bpe into Cin addr
v_cndmask_b32 v249, -1, v249, s[56:57]             // LDC clip if OOB. offset
_buffer_load_d16_b16 v250, v249, s[sgprSrdC:sgprSrdC+3], 0, offen offset:0,  glc slc // load C for beta calc
_v_add_lshl_u32 v249, v131, v128, 0x1              // scaleToBpe: accumulate d0 lower and *= bpe into Cin addr
v_cndmask_b32 v249, -1, v249, s[56:57]             // LDD clip if OOB. offset
/* (d1,vc1,d0,vc0)=(2,2,0,1) */
_v_add_co_u32 v132, vcc, v128, 1                   // coord0.1: coord0 += d0*sg0*VW + vc0
v_cmp_lt_u32 s[52:53], v132, s[sgprSizeI]          // coord0 < size0
v_cmp_lt_u32 s[56:57], v129, s[sgprSizeJ]          // coord1 < size1
s_and_b64 s[56:57], s[52:53], s[56:57]             // in0 && in1
_v_add_lshl_u32 v252, v130, v132, 0x1              // scaleToBpe: accumulate d0 lower and *= bpe into Cin addr
v_cndmask_b32 v252, -1, v252, s[56:57]             // LDC clip if OOB. offset
_buffer_load_d16_b16 v253, v252, s[sgprSrdC:sgprSrdC+3], 0, offen offset:0,  glc slc // load C for beta calc
_v_add_lshl_u32 v252, v131, v132, 0x1              // scaleToBpe: accumulate d0 lower and *= bpe into Cin addr
v_cndmask_b32 v252, -1, v252, s[56:57]             // LDD clip if OOB. offset

/* rC *= alpha batchElements=[(0, 0, 0, 0), (0, 0, 0, 1), (0, 0, 1, 0), (0, 0, 1, 1), (0, 0, 2, 0), (0, 0, 2, 1), (0, 0, 3, 0), (0, 0, 3, 1), (0, 0, 4, 0), (0, 0, 4, 1), (0, 0, 5, 0), (0, 0, 5, 1), (0, 0, 6, 0), (0, 0, 6, 1), (0, 0, 7, 0), (0, 0, 7, 1), (1, 0, 0, 0), (1, 0, 0, 1), (1, 0, 1, 0), (1, 0, 1, 1), (1, 0, 2, 0), (1, 0, 2, 1), (1, 0, 3, 0), (1, 0, 3, 1), (1, 0, 4, 0), (1, 0, 4, 1), (1, 0, 5, 0), (1, 0, 5, 1), (1, 0, 6, 0), (1, 0, 6, 1), (1, 0, 7, 0), (1, 0, 7, 1), (2, 0, 0, 0), (2, 0, 0, 1), (2, 0, 1, 0), (2, 0, 1, 1), (2, 0, 2, 0), (2, 0, 2, 1)] */
v_mul_f32 v[vgprValuC+140], s[sgprAlpha], v[vgprValuC+0] // Multiply MI out reg with alpha
v_mul_f32 v[vgprValuC+143], s[sgprAlpha], v[vgprValuC+16] // Multiply MI out reg with alpha
	;; [unrolled: 1-line block ×38, first 2 shown]
s_waitcnt vmcnt(0)                                 // wait C

/* apply mask, calc new C and issue writes */
v_mov_b32 v135, 0xffff0000                         // mask for pack two bfloat16 element to 32bit
v_mov_b32 v136, 0x7fff0000                         // fp32 Nan
v_mov_b32 v137, 0x7fff                             // rounding bias for bfloat16
v_lshlrev_b32 v132, 16, v139                       // convert bf16 to fp32
_v_mac_f32 v[vgprValuC+140], v132, s[sgprBeta]     // finalSum = sum*alpha + C*beta
v_cmp_u_f32 s[52:53], v[vgprValuC+140], v[vgprValuC+140] // check Nan
v_bfe_u32 v134, v[vgprValuC+140], 16, 1            // Non-Nan case: store lsb of bf16
v_add3_u32 v134, v[vgprValuC+140], v134, v137      // Non-Nan case: add lsb and the increment for rounding
v_cndmask_b32 v[vgprValuC+140], v134, v136, s[52:53] // 
v_lshrrev_b32 v[vgprValuC+140], 16, v[vgprValuC+140] // convert C to bf16
_buffer_store_b16 v140, v138, s[sgprSrdD:sgprSrdD+3], 0, offen, offset:0,  glc slc // store D
v_lshlrev_b32 v132, 16, v142                       // convert bf16 to fp32
_v_mac_f32 v[vgprValuC+143], v132, s[sgprBeta]     // finalSum = sum*alpha + C*beta
v_cmp_u_f32 s[52:53], v[vgprValuC+143], v[vgprValuC+143] // check Nan
v_bfe_u32 v134, v[vgprValuC+143], 16, 1            // Non-Nan case: store lsb of bf16
v_add3_u32 v134, v[vgprValuC+143], v134, v137      // Non-Nan case: add lsb and the increment for rounding
v_cndmask_b32 v[vgprValuC+143], v134, v136, s[52:53] // 
v_lshrrev_b32 v[vgprValuC+143], 16, v[vgprValuC+143] // convert C to bf16
_buffer_store_b16 v143, v141, s[sgprSrdD:sgprSrdD+3], 0, offen, offset:0,  glc slc // store D
	;; [unrolled: 8-line block ×38, first 2 shown]
s_nop 0                                            // 1 wait state required when next inst writes vgprs held by previous dwordx4 store inst
/* optSingleColVgpr=0 optSharedColVgpr=0 optSGPRUsage=BufferLoad_Edge_Mask optSrdIncForRow=0 */

/******************************************/
/* Global Write Alpha Beta Edge Batch #1 (d1,d0,vc1,vc0) = */
/*    (2,0,3,0:vw1); (2,0,3,1:vw1); (2,0,4,0:vw1); (2,0,4,1:vw1); (2,0,5,0:vw1); (2,0,5,1:vw1); (2,0,6,0:vw1); (2,0,6,1:vw1); (2,0,7,0:vw1); (2,0,7,1:vw1); (3,0,0,0:vw1); (3,0,0,1:vw1); (3,0,1,0:vw1); (3,0,1,1:vw1); (3,0,2,0:vw1); (3,0,2,1:vw1); (3,0,3,0:vw1); (3,0,3,1:vw1); (3,0,4,0:vw1); (3,0,4,1:vw1); (3,0,5,0:vw1); (3,0,5,1:vw1); (3,0,6,0:vw1); (3,0,6,1:vw1); (3,0,7,0:vw1); (3,0,7,1:vw1); (4,0,0,0:vw1); (4,0,0,1:vw1); (4,0,1,0:vw1); (4,0,1,1:vw1); (4,0,2,0:vw1); (4,0,2,1:vw1); (4,0,3,0:vw1); (4,0,3,1:vw1); (4,0,4,0:vw1); (4,0,4,1:vw1); (4,0,5,0:vw1); (4,0,5,1:vw1) */
/******************************************/

/* calc coords, apply mask, and issue loads (if necessary) */
/* (d1,vc1,d0,vc0)=(2,3,0,0) */
_v_add_co_u32 v129, vcc, v129, 1                   // coord1.1: coord1Vgpr += d1*sg1*VW + vc1

/* Fix for UseInitialStridesCD, emitAddressSetupCode */
_v_add_u32 v130, v130, s[sgprStrideC1J]            // ROWINC- Move cinRowPtr to next row
_v_add_u32 v131, v131, s[sgprStrideD1J]            // Move coutRowPtr to next row
v_cmp_lt_u32 s[52:53], v128, s[sgprSizeI]          // coord0 < size0
v_cmp_lt_u32 s[56:57], v129, s[sgprSizeJ]          // coord1 < size1
s_and_b64 s[56:57], s[52:53], s[56:57]             // in0 && in1
_v_add_lshl_u32 v138, v130, v128, 0x1              // scaleToBpe: accumulate d0 lower and *= bpe into Cin addr
v_cndmask_b32 v138, -1, v138, s[56:57]             // LDC clip if OOB. offset
_buffer_load_d16_b16 v139, v138, s[sgprSrdC:sgprSrdC+3], 0, offen offset:0,  glc slc // load C for beta calc
_v_add_lshl_u32 v138, v131, v128, 0x1              // scaleToBpe: accumulate d0 lower and *= bpe into Cin addr
v_cndmask_b32 v138, -1, v138, s[56:57]             // LDD clip if OOB. offset
/* (d1,vc1,d0,vc0)=(2,3,0,1) */
_v_add_co_u32 v132, vcc, v128, 1                   // coord0.1: coord0 += d0*sg0*VW + vc0
v_cmp_lt_u32 s[52:53], v132, s[sgprSizeI]          // coord0 < size0
v_cmp_lt_u32 s[56:57], v129, s[sgprSizeJ]          // coord1 < size1
s_and_b64 s[56:57], s[52:53], s[56:57]             // in0 && in1
_v_add_lshl_u32 v141, v130, v132, 0x1              // scaleToBpe: accumulate d0 lower and *= bpe into Cin addr
v_cndmask_b32 v141, -1, v141, s[56:57]             // LDC clip if OOB. offset
_buffer_load_d16_b16 v142, v141, s[sgprSrdC:sgprSrdC+3], 0, offen offset:0,  glc slc // load C for beta calc
_v_add_lshl_u32 v141, v131, v132, 0x1              // scaleToBpe: accumulate d0 lower and *= bpe into Cin addr
v_cndmask_b32 v141, -1, v141, s[56:57]             // LDD clip if OOB. offset
/* (d1,vc1,d0,vc0)=(2,4,0,0) */
_v_add_co_u32 v129, vcc, v129, 1                   // coord1.1: coord1Vgpr += d1*sg1*VW + vc1

/* Fix for UseInitialStridesCD, emitAddressSetupCode */
_v_add_u32 v130, v130, s[sgprStrideC1J]            // ROWINC- Move cinRowPtr to next row
_v_add_u32 v131, v131, s[sgprStrideD1J]            // Move coutRowPtr to next row
v_cmp_lt_u32 s[52:53], v128, s[sgprSizeI]          // coord0 < size0
v_cmp_lt_u32 s[56:57], v129, s[sgprSizeJ]          // coord1 < size1
s_and_b64 s[56:57], s[52:53], s[56:57]             // in0 && in1
_v_add_lshl_u32 v144, v130, v128, 0x1              // scaleToBpe: accumulate d0 lower and *= bpe into Cin addr
v_cndmask_b32 v144, -1, v144, s[56:57]             // LDC clip if OOB. offset
_buffer_load_d16_b16 v145, v144, s[sgprSrdC:sgprSrdC+3], 0, offen offset:0,  glc slc // load C for beta calc
_v_add_lshl_u32 v144, v131, v128, 0x1              // scaleToBpe: accumulate d0 lower and *= bpe into Cin addr
v_cndmask_b32 v144, -1, v144, s[56:57]             // LDD clip if OOB. offset
/* (d1,vc1,d0,vc0)=(2,4,0,1) */
_v_add_co_u32 v132, vcc, v128, 1                   // coord0.1: coord0 += d0*sg0*VW + vc0
v_cmp_lt_u32 s[52:53], v132, s[sgprSizeI]          // coord0 < size0
v_cmp_lt_u32 s[56:57], v129, s[sgprSizeJ]          // coord1 < size1
s_and_b64 s[56:57], s[52:53], s[56:57]             // in0 && in1
_v_add_lshl_u32 v147, v130, v132, 0x1              // scaleToBpe: accumulate d0 lower and *= bpe into Cin addr
v_cndmask_b32 v147, -1, v147, s[56:57]             // LDC clip if OOB. offset
_buffer_load_d16_b16 v148, v147, s[sgprSrdC:sgprSrdC+3], 0, offen offset:0,  glc slc // load C for beta calc
_v_add_lshl_u32 v147, v131, v132, 0x1              // scaleToBpe: accumulate d0 lower and *= bpe into Cin addr
v_cndmask_b32 v147, -1, v147, s[56:57]             // LDD clip if OOB. offset
/* (d1,vc1,d0,vc0)=(2,5,0,0) */
_v_add_co_u32 v129, vcc, v129, 1                   // coord1.1: coord1Vgpr += d1*sg1*VW + vc1

/* Fix for UseInitialStridesCD, emitAddressSetupCode */
_v_add_u32 v130, v130, s[sgprStrideC1J]            // ROWINC- Move cinRowPtr to next row
_v_add_u32 v131, v131, s[sgprStrideD1J]            // Move coutRowPtr to next row
v_cmp_lt_u32 s[52:53], v128, s[sgprSizeI]          // coord0 < size0
v_cmp_lt_u32 s[56:57], v129, s[sgprSizeJ]          // coord1 < size1
s_and_b64 s[56:57], s[52:53], s[56:57]             // in0 && in1
_v_add_lshl_u32 v150, v130, v128, 0x1              // scaleToBpe: accumulate d0 lower and *= bpe into Cin addr
v_cndmask_b32 v150, -1, v150, s[56:57]             // LDC clip if OOB. offset
_buffer_load_d16_b16 v151, v150, s[sgprSrdC:sgprSrdC+3], 0, offen offset:0,  glc slc // load C for beta calc
_v_add_lshl_u32 v150, v131, v128, 0x1              // scaleToBpe: accumulate d0 lower and *= bpe into Cin addr
v_cndmask_b32 v150, -1, v150, s[56:57]             // LDD clip if OOB. offset
/* (d1,vc1,d0,vc0)=(2,5,0,1) */
_v_add_co_u32 v132, vcc, v128, 1                   // coord0.1: coord0 += d0*sg0*VW + vc0
v_cmp_lt_u32 s[52:53], v132, s[sgprSizeI]          // coord0 < size0
v_cmp_lt_u32 s[56:57], v129, s[sgprSizeJ]          // coord1 < size1
s_and_b64 s[56:57], s[52:53], s[56:57]             // in0 && in1
_v_add_lshl_u32 v153, v130, v132, 0x1              // scaleToBpe: accumulate d0 lower and *= bpe into Cin addr
v_cndmask_b32 v153, -1, v153, s[56:57]             // LDC clip if OOB. offset
_buffer_load_d16_b16 v154, v153, s[sgprSrdC:sgprSrdC+3], 0, offen offset:0,  glc slc // load C for beta calc
_v_add_lshl_u32 v153, v131, v132, 0x1              // scaleToBpe: accumulate d0 lower and *= bpe into Cin addr
v_cndmask_b32 v153, -1, v153, s[56:57]             // LDD clip if OOB. offset
/* (d1,vc1,d0,vc0)=(2,6,0,0) */
_v_add_co_u32 v129, vcc, v129, 1                   // coord1.1: coord1Vgpr += d1*sg1*VW + vc1

/* Fix for UseInitialStridesCD, emitAddressSetupCode */
_v_add_u32 v130, v130, s[sgprStrideC1J]            // ROWINC- Move cinRowPtr to next row
_v_add_u32 v131, v131, s[sgprStrideD1J]            // Move coutRowPtr to next row
v_cmp_lt_u32 s[52:53], v128, s[sgprSizeI]          // coord0 < size0
v_cmp_lt_u32 s[56:57], v129, s[sgprSizeJ]          // coord1 < size1
s_and_b64 s[56:57], s[52:53], s[56:57]             // in0 && in1
_v_add_lshl_u32 v156, v130, v128, 0x1              // scaleToBpe: accumulate d0 lower and *= bpe into Cin addr
v_cndmask_b32 v156, -1, v156, s[56:57]             // LDC clip if OOB. offset
_buffer_load_d16_b16 v157, v156, s[sgprSrdC:sgprSrdC+3], 0, offen offset:0,  glc slc // load C for beta calc
_v_add_lshl_u32 v156, v131, v128, 0x1              // scaleToBpe: accumulate d0 lower and *= bpe into Cin addr
v_cndmask_b32 v156, -1, v156, s[56:57]             // LDD clip if OOB. offset
/* (d1,vc1,d0,vc0)=(2,6,0,1) */
_v_add_co_u32 v132, vcc, v128, 1                   // coord0.1: coord0 += d0*sg0*VW + vc0
v_cmp_lt_u32 s[52:53], v132, s[sgprSizeI]          // coord0 < size0
v_cmp_lt_u32 s[56:57], v129, s[sgprSizeJ]          // coord1 < size1
s_and_b64 s[56:57], s[52:53], s[56:57]             // in0 && in1
_v_add_lshl_u32 v159, v130, v132, 0x1              // scaleToBpe: accumulate d0 lower and *= bpe into Cin addr
v_cndmask_b32 v159, -1, v159, s[56:57]             // LDC clip if OOB. offset
_buffer_load_d16_b16 v160, v159, s[sgprSrdC:sgprSrdC+3], 0, offen offset:0,  glc slc // load C for beta calc
_v_add_lshl_u32 v159, v131, v132, 0x1              // scaleToBpe: accumulate d0 lower and *= bpe into Cin addr
v_cndmask_b32 v159, -1, v159, s[56:57]             // LDD clip if OOB. offset
/* (d1,vc1,d0,vc0)=(2,7,0,0) */
_v_add_co_u32 v129, vcc, v129, 1                   // coord1.1: coord1Vgpr += d1*sg1*VW + vc1

/* Fix for UseInitialStridesCD, emitAddressSetupCode */
_v_add_u32 v130, v130, s[sgprStrideC1J]            // ROWINC- Move cinRowPtr to next row
_v_add_u32 v131, v131, s[sgprStrideD1J]            // Move coutRowPtr to next row
v_cmp_lt_u32 s[52:53], v128, s[sgprSizeI]          // coord0 < size0
v_cmp_lt_u32 s[56:57], v129, s[sgprSizeJ]          // coord1 < size1
s_and_b64 s[56:57], s[52:53], s[56:57]             // in0 && in1
_v_add_lshl_u32 v162, v130, v128, 0x1              // scaleToBpe: accumulate d0 lower and *= bpe into Cin addr
v_cndmask_b32 v162, -1, v162, s[56:57]             // LDC clip if OOB. offset
_buffer_load_d16_b16 v163, v162, s[sgprSrdC:sgprSrdC+3], 0, offen offset:0,  glc slc // load C for beta calc
_v_add_lshl_u32 v162, v131, v128, 0x1              // scaleToBpe: accumulate d0 lower and *= bpe into Cin addr
v_cndmask_b32 v162, -1, v162, s[56:57]             // LDD clip if OOB. offset
/* (d1,vc1,d0,vc0)=(2,7,0,1) */
_v_add_co_u32 v132, vcc, v128, 1                   // coord0.1: coord0 += d0*sg0*VW + vc0
v_cmp_lt_u32 s[52:53], v132, s[sgprSizeI]          // coord0 < size0
v_cmp_lt_u32 s[56:57], v129, s[sgprSizeJ]          // coord1 < size1
s_and_b64 s[56:57], s[52:53], s[56:57]             // in0 && in1
_v_add_lshl_u32 v165, v130, v132, 0x1              // scaleToBpe: accumulate d0 lower and *= bpe into Cin addr
v_cndmask_b32 v165, -1, v165, s[56:57]             // LDC clip if OOB. offset
_buffer_load_d16_b16 v166, v165, s[sgprSrdC:sgprSrdC+3], 0, offen offset:0,  glc slc // load C for beta calc
_v_add_lshl_u32 v165, v131, v132, 0x1              // scaleToBpe: accumulate d0 lower and *= bpe into Cin addr
v_cndmask_b32 v165, -1, v165, s[56:57]             // LDD clip if OOB. offset
/* (d1,vc1,d0,vc0)=(3,0,0,0) */
_v_add_co_u32 v129, vcc, v129, 9                   // coord1.1: coord1Vgpr += d1*sg1*VW + vc1

/* Fix for UseInitialStridesCD, emitAddressSetupCode */
s_mul_i32 s52, s[sgprStrideC1J], 9                 // scale stride
_v_add_u32 v130, v130, s52                         // ROWINC- Move cinRowPtr to next row
s_mul_i32 s52, s[sgprStrideD1J], 9                 // scale stride
_v_add_u32 v131, v131, s52                         // Move coutRowPtr to next row
v_cmp_lt_u32 s[52:53], v128, s[sgprSizeI]          // coord0 < size0
v_cmp_lt_u32 s[56:57], v129, s[sgprSizeJ]          // coord1 < size1
s_and_b64 s[56:57], s[52:53], s[56:57]             // in0 && in1
_v_add_lshl_u32 v168, v130, v128, 0x1              // scaleToBpe: accumulate d0 lower and *= bpe into Cin addr
v_cndmask_b32 v168, -1, v168, s[56:57]             // LDC clip if OOB. offset
_buffer_load_d16_b16 v169, v168, s[sgprSrdC:sgprSrdC+3], 0, offen offset:0,  glc slc // load C for beta calc
_v_add_lshl_u32 v168, v131, v128, 0x1              // scaleToBpe: accumulate d0 lower and *= bpe into Cin addr
v_cndmask_b32 v168, -1, v168, s[56:57]             // LDD clip if OOB. offset
/* (d1,vc1,d0,vc0)=(3,0,0,1) */
_v_add_co_u32 v132, vcc, v128, 1                   // coord0.1: coord0 += d0*sg0*VW + vc0
v_cmp_lt_u32 s[52:53], v132, s[sgprSizeI]          // coord0 < size0
v_cmp_lt_u32 s[56:57], v129, s[sgprSizeJ]          // coord1 < size1
s_and_b64 s[56:57], s[52:53], s[56:57]             // in0 && in1
_v_add_lshl_u32 v171, v130, v132, 0x1              // scaleToBpe: accumulate d0 lower and *= bpe into Cin addr
v_cndmask_b32 v171, -1, v171, s[56:57]             // LDC clip if OOB. offset
_buffer_load_d16_b16 v172, v171, s[sgprSrdC:sgprSrdC+3], 0, offen offset:0,  glc slc // load C for beta calc
_v_add_lshl_u32 v171, v131, v132, 0x1              // scaleToBpe: accumulate d0 lower and *= bpe into Cin addr
v_cndmask_b32 v171, -1, v171, s[56:57]             // LDD clip if OOB. offset
/* (d1,vc1,d0,vc0)=(3,1,0,0) */
_v_add_co_u32 v129, vcc, v129, 1                   // coord1.1: coord1Vgpr += d1*sg1*VW + vc1

/* Fix for UseInitialStridesCD, emitAddressSetupCode */
_v_add_u32 v130, v130, s[sgprStrideC1J]            // ROWINC- Move cinRowPtr to next row
_v_add_u32 v131, v131, s[sgprStrideD1J]            // Move coutRowPtr to next row
v_cmp_lt_u32 s[52:53], v128, s[sgprSizeI]          // coord0 < size0
v_cmp_lt_u32 s[56:57], v129, s[sgprSizeJ]          // coord1 < size1
s_and_b64 s[56:57], s[52:53], s[56:57]             // in0 && in1
_v_add_lshl_u32 v174, v130, v128, 0x1              // scaleToBpe: accumulate d0 lower and *= bpe into Cin addr
v_cndmask_b32 v174, -1, v174, s[56:57]             // LDC clip if OOB. offset
_buffer_load_d16_b16 v175, v174, s[sgprSrdC:sgprSrdC+3], 0, offen offset:0,  glc slc // load C for beta calc
_v_add_lshl_u32 v174, v131, v128, 0x1              // scaleToBpe: accumulate d0 lower and *= bpe into Cin addr
v_cndmask_b32 v174, -1, v174, s[56:57]             // LDD clip if OOB. offset
/* (d1,vc1,d0,vc0)=(3,1,0,1) */
_v_add_co_u32 v132, vcc, v128, 1                   // coord0.1: coord0 += d0*sg0*VW + vc0
v_cmp_lt_u32 s[52:53], v132, s[sgprSizeI]          // coord0 < size0
v_cmp_lt_u32 s[56:57], v129, s[sgprSizeJ]          // coord1 < size1
s_and_b64 s[56:57], s[52:53], s[56:57]             // in0 && in1
_v_add_lshl_u32 v177, v130, v132, 0x1              // scaleToBpe: accumulate d0 lower and *= bpe into Cin addr
v_cndmask_b32 v177, -1, v177, s[56:57]             // LDC clip if OOB. offset
_buffer_load_d16_b16 v178, v177, s[sgprSrdC:sgprSrdC+3], 0, offen offset:0,  glc slc // load C for beta calc
_v_add_lshl_u32 v177, v131, v132, 0x1              // scaleToBpe: accumulate d0 lower and *= bpe into Cin addr
v_cndmask_b32 v177, -1, v177, s[56:57]             // LDD clip if OOB. offset
/* (d1,vc1,d0,vc0)=(3,2,0,0) */
_v_add_co_u32 v129, vcc, v129, 1                   // coord1.1: coord1Vgpr += d1*sg1*VW + vc1

/* Fix for UseInitialStridesCD, emitAddressSetupCode */
_v_add_u32 v130, v130, s[sgprStrideC1J]            // ROWINC- Move cinRowPtr to next row
_v_add_u32 v131, v131, s[sgprStrideD1J]            // Move coutRowPtr to next row
	;; [unrolled: 24-line block ×7, first 2 shown]
v_cmp_lt_u32 s[52:53], v128, s[sgprSizeI]          // coord0 < size0
v_cmp_lt_u32 s[56:57], v129, s[sgprSizeJ]          // coord1 < size1
s_and_b64 s[56:57], s[52:53], s[56:57]             // in0 && in1
_v_add_lshl_u32 v213, v130, v128, 0x1              // scaleToBpe: accumulate d0 lower and *= bpe into Cin addr
v_cndmask_b32 v213, -1, v213, s[56:57]             // LDC clip if OOB. offset
_buffer_load_d16_b16 v214, v213, s[sgprSrdC:sgprSrdC+3], 0, offen offset:0,  glc slc // load C for beta calc
_v_add_lshl_u32 v213, v131, v128, 0x1              // scaleToBpe: accumulate d0 lower and *= bpe into Cin addr
v_cndmask_b32 v213, -1, v213, s[56:57]             // LDD clip if OOB. offset
/* (d1,vc1,d0,vc0)=(3,7,0,1) */
_v_add_co_u32 v132, vcc, v128, 1                   // coord0.1: coord0 += d0*sg0*VW + vc0
v_cmp_lt_u32 s[52:53], v132, s[sgprSizeI]          // coord0 < size0
v_cmp_lt_u32 s[56:57], v129, s[sgprSizeJ]          // coord1 < size1
s_and_b64 s[56:57], s[52:53], s[56:57]             // in0 && in1
_v_add_lshl_u32 v216, v130, v132, 0x1              // scaleToBpe: accumulate d0 lower and *= bpe into Cin addr
v_cndmask_b32 v216, -1, v216, s[56:57]             // LDC clip if OOB. offset
_buffer_load_d16_b16 v217, v216, s[sgprSrdC:sgprSrdC+3], 0, offen offset:0,  glc slc // load C for beta calc
_v_add_lshl_u32 v216, v131, v132, 0x1              // scaleToBpe: accumulate d0 lower and *= bpe into Cin addr
v_cndmask_b32 v216, -1, v216, s[56:57]             // LDD clip if OOB. offset
/* (d1,vc1,d0,vc0)=(4,0,0,0) */
s_mov_b32 s52, 73                                  // rowInc d1=0 vc1=0
_v_add_co_u32 v129, vcc, v129, s52                 // coord1.2: coord1 += d1*sg1*VW + vc1

/* Fix for UseInitialStridesCD, emitAddressSetupCode */
s_mul_i32 s52, s[sgprStrideC1J], 73                // scale stride
_v_add_u32 v130, v130, s52                         // ROWINC- Move cinRowPtr to next row
s_mul_i32 s52, s[sgprStrideD1J], 73                // scale stride
_v_add_u32 v131, v131, s52                         // Move coutRowPtr to next row
v_cmp_lt_u32 s[52:53], v128, s[sgprSizeI]          // coord0 < size0
v_cmp_lt_u32 s[56:57], v129, s[sgprSizeJ]          // coord1 < size1
s_and_b64 s[56:57], s[52:53], s[56:57]             // in0 && in1
_v_add_lshl_u32 v219, v130, v128, 0x1              // scaleToBpe: accumulate d0 lower and *= bpe into Cin addr
v_cndmask_b32 v219, -1, v219, s[56:57]             // LDC clip if OOB. offset
_buffer_load_d16_b16 v220, v219, s[sgprSrdC:sgprSrdC+3], 0, offen offset:0,  glc slc // load C for beta calc
_v_add_lshl_u32 v219, v131, v128, 0x1              // scaleToBpe: accumulate d0 lower and *= bpe into Cin addr
v_cndmask_b32 v219, -1, v219, s[56:57]             // LDD clip if OOB. offset
/* (d1,vc1,d0,vc0)=(4,0,0,1) */
_v_add_co_u32 v132, vcc, v128, 1                   // coord0.1: coord0 += d0*sg0*VW + vc0
v_cmp_lt_u32 s[52:53], v132, s[sgprSizeI]          // coord0 < size0
v_cmp_lt_u32 s[56:57], v129, s[sgprSizeJ]          // coord1 < size1
s_and_b64 s[56:57], s[52:53], s[56:57]             // in0 && in1
_v_add_lshl_u32 v222, v130, v132, 0x1              // scaleToBpe: accumulate d0 lower and *= bpe into Cin addr
v_cndmask_b32 v222, -1, v222, s[56:57]             // LDC clip if OOB. offset
_buffer_load_d16_b16 v223, v222, s[sgprSrdC:sgprSrdC+3], 0, offen offset:0,  glc slc // load C for beta calc
_v_add_lshl_u32 v222, v131, v132, 0x1              // scaleToBpe: accumulate d0 lower and *= bpe into Cin addr
v_cndmask_b32 v222, -1, v222, s[56:57]             // LDD clip if OOB. offset
/* (d1,vc1,d0,vc0)=(4,1,0,0) */
_v_add_co_u32 v129, vcc, v129, 1                   // coord1.1: coord1Vgpr += d1*sg1*VW + vc1

/* Fix for UseInitialStridesCD, emitAddressSetupCode */
_v_add_u32 v130, v130, s[sgprStrideC1J]            // ROWINC- Move cinRowPtr to next row
_v_add_u32 v131, v131, s[sgprStrideD1J]            // Move coutRowPtr to next row
v_cmp_lt_u32 s[52:53], v128, s[sgprSizeI]          // coord0 < size0
v_cmp_lt_u32 s[56:57], v129, s[sgprSizeJ]          // coord1 < size1
s_and_b64 s[56:57], s[52:53], s[56:57]             // in0 && in1
_v_add_lshl_u32 v225, v130, v128, 0x1              // scaleToBpe: accumulate d0 lower and *= bpe into Cin addr
v_cndmask_b32 v225, -1, v225, s[56:57]             // LDC clip if OOB. offset
_buffer_load_d16_b16 v226, v225, s[sgprSrdC:sgprSrdC+3], 0, offen offset:0,  glc slc // load C for beta calc
_v_add_lshl_u32 v225, v131, v128, 0x1              // scaleToBpe: accumulate d0 lower and *= bpe into Cin addr
v_cndmask_b32 v225, -1, v225, s[56:57]             // LDD clip if OOB. offset
/* (d1,vc1,d0,vc0)=(4,1,0,1) */
_v_add_co_u32 v132, vcc, v128, 1                   // coord0.1: coord0 += d0*sg0*VW + vc0
v_cmp_lt_u32 s[52:53], v132, s[sgprSizeI]          // coord0 < size0
v_cmp_lt_u32 s[56:57], v129, s[sgprSizeJ]          // coord1 < size1
s_and_b64 s[56:57], s[52:53], s[56:57]             // in0 && in1
_v_add_lshl_u32 v228, v130, v132, 0x1              // scaleToBpe: accumulate d0 lower and *= bpe into Cin addr
v_cndmask_b32 v228, -1, v228, s[56:57]             // LDC clip if OOB. offset
_buffer_load_d16_b16 v229, v228, s[sgprSrdC:sgprSrdC+3], 0, offen offset:0,  glc slc // load C for beta calc
_v_add_lshl_u32 v228, v131, v132, 0x1              // scaleToBpe: accumulate d0 lower and *= bpe into Cin addr
v_cndmask_b32 v228, -1, v228, s[56:57]             // LDD clip if OOB. offset
/* (d1,vc1,d0,vc0)=(4,2,0,0) */
_v_add_co_u32 v129, vcc, v129, 1                   // coord1.1: coord1Vgpr += d1*sg1*VW + vc1

/* Fix for UseInitialStridesCD, emitAddressSetupCode */
_v_add_u32 v130, v130, s[sgprStrideC1J]            // ROWINC- Move cinRowPtr to next row
_v_add_u32 v131, v131, s[sgprStrideD1J]            // Move coutRowPtr to next row
	;; [unrolled: 24-line block ×5, first 2 shown]
v_cmp_lt_u32 s[52:53], v128, s[sgprSizeI]          // coord0 < size0
v_cmp_lt_u32 s[56:57], v129, s[sgprSizeJ]          // coord1 < size1
s_and_b64 s[56:57], s[52:53], s[56:57]             // in0 && in1
_v_add_lshl_u32 v249, v130, v128, 0x1              // scaleToBpe: accumulate d0 lower and *= bpe into Cin addr
v_cndmask_b32 v249, -1, v249, s[56:57]             // LDC clip if OOB. offset
_buffer_load_d16_b16 v250, v249, s[sgprSrdC:sgprSrdC+3], 0, offen offset:0,  glc slc // load C for beta calc
_v_add_lshl_u32 v249, v131, v128, 0x1              // scaleToBpe: accumulate d0 lower and *= bpe into Cin addr
v_cndmask_b32 v249, -1, v249, s[56:57]             // LDD clip if OOB. offset
/* (d1,vc1,d0,vc0)=(4,5,0,1) */
_v_add_co_u32 v132, vcc, v128, 1                   // coord0.1: coord0 += d0*sg0*VW + vc0
v_cmp_lt_u32 s[52:53], v132, s[sgprSizeI]          // coord0 < size0
v_cmp_lt_u32 s[56:57], v129, s[sgprSizeJ]          // coord1 < size1
s_and_b64 s[56:57], s[52:53], s[56:57]             // in0 && in1
_v_add_lshl_u32 v252, v130, v132, 0x1              // scaleToBpe: accumulate d0 lower and *= bpe into Cin addr
v_cndmask_b32 v252, -1, v252, s[56:57]             // LDC clip if OOB. offset
_buffer_load_d16_b16 v253, v252, s[sgprSrdC:sgprSrdC+3], 0, offen offset:0,  glc slc // load C for beta calc
_v_add_lshl_u32 v252, v131, v132, 0x1              // scaleToBpe: accumulate d0 lower and *= bpe into Cin addr
v_cndmask_b32 v252, -1, v252, s[56:57]             // LDD clip if OOB. offset

/* rC *= alpha batchElements=[(2, 0, 3, 0), (2, 0, 3, 1), (2, 0, 4, 0), (2, 0, 4, 1), (2, 0, 5, 0), (2, 0, 5, 1), (2, 0, 6, 0), (2, 0, 6, 1), (2, 0, 7, 0), (2, 0, 7, 1), (3, 0, 0, 0), (3, 0, 0, 1), (3, 0, 1, 0), (3, 0, 1, 1), (3, 0, 2, 0), (3, 0, 2, 1), (3, 0, 3, 0), (3, 0, 3, 1), (3, 0, 4, 0), (3, 0, 4, 1), (3, 0, 5, 0), (3, 0, 5, 1), (3, 0, 6, 0), (3, 0, 6, 1), (3, 0, 7, 0), (3, 0, 7, 1), (4, 0, 0, 0), (4, 0, 0, 1), (4, 0, 1, 0), (4, 0, 1, 1), (4, 0, 2, 0), (4, 0, 2, 1), (4, 0, 3, 0), (4, 0, 3, 1), (4, 0, 4, 0), (4, 0, 4, 1), (4, 0, 5, 0), (4, 0, 5, 1)] */
v_mul_f32 v[vgprValuC+140], s[sgprAlpha], v[vgprValuC+41] // Multiply MI out reg with alpha
v_mul_f32 v[vgprValuC+143], s[sgprAlpha], v[vgprValuC+57] // Multiply MI out reg with alpha
v_mul_f32 v[vgprValuC+146], s[sgprAlpha], v[vgprValuC+10] // Multiply MI out reg with alpha
v_mul_f32 v[vgprValuC+149], s[sgprAlpha], v[vgprValuC+26] // Multiply MI out reg with alpha
v_mul_f32 v[vgprValuC+152], s[sgprAlpha], v[vgprValuC+42] // Multiply MI out reg with alpha
v_mul_f32 v[vgprValuC+155], s[sgprAlpha], v[vgprValuC+58] // Multiply MI out reg with alpha
v_mul_f32 v[vgprValuC+158], s[sgprAlpha], v[vgprValuC+11] // Multiply MI out reg with alpha
v_mul_f32 v[vgprValuC+161], s[sgprAlpha], v[vgprValuC+27] // Multiply MI out reg with alpha
v_mul_f32 v[vgprValuC+164], s[sgprAlpha], v[vgprValuC+43] // Multiply MI out reg with alpha
v_mul_f32 v[vgprValuC+167], s[sgprAlpha], v[vgprValuC+59] // Multiply MI out reg with alpha
v_mul_f32 v[vgprValuC+170], s[sgprAlpha], v[vgprValuC+12] // Multiply MI out reg with alpha
v_mul_f32 v[vgprValuC+173], s[sgprAlpha], v[vgprValuC+28] // Multiply MI out reg with alpha
v_mul_f32 v[vgprValuC+176], s[sgprAlpha], v[vgprValuC+44] // Multiply MI out reg with alpha
v_mul_f32 v[vgprValuC+179], s[sgprAlpha], v[vgprValuC+60] // Multiply MI out reg with alpha
v_mul_f32 v[vgprValuC+182], s[sgprAlpha], v[vgprValuC+13] // Multiply MI out reg with alpha
v_mul_f32 v[vgprValuC+185], s[sgprAlpha], v[vgprValuC+29] // Multiply MI out reg with alpha
v_mul_f32 v[vgprValuC+188], s[sgprAlpha], v[vgprValuC+45] // Multiply MI out reg with alpha
v_mul_f32 v[vgprValuC+191], s[sgprAlpha], v[vgprValuC+61] // Multiply MI out reg with alpha
v_mul_f32 v[vgprValuC+194], s[sgprAlpha], v[vgprValuC+14] // Multiply MI out reg with alpha
v_mul_f32 v[vgprValuC+197], s[sgprAlpha], v[vgprValuC+30] // Multiply MI out reg with alpha
v_mul_f32 v[vgprValuC+200], s[sgprAlpha], v[vgprValuC+46] // Multiply MI out reg with alpha
v_mul_f32 v[vgprValuC+203], s[sgprAlpha], v[vgprValuC+62] // Multiply MI out reg with alpha
v_mul_f32 v[vgprValuC+206], s[sgprAlpha], v[vgprValuC+15] // Multiply MI out reg with alpha
v_mul_f32 v[vgprValuC+212], s[sgprAlpha], v[vgprValuC+31] // Multiply MI out reg with alpha
v_mul_f32 v[vgprValuC+215], s[sgprAlpha], v[vgprValuC+47] // Multiply MI out reg with alpha
v_mul_f32 v[vgprValuC+218], s[sgprAlpha], v[vgprValuC+63] // Multiply MI out reg with alpha
v_mul_f32 v[vgprValuC+221], s[sgprAlpha], v[vgprValuC+64] // Multiply MI out reg with alpha
v_mul_f32 v[vgprValuC+224], s[sgprAlpha], v[vgprValuC+80] // Multiply MI out reg with alpha
v_mul_f32 v[vgprValuC+227], s[sgprAlpha], v[vgprValuC+96] // Multiply MI out reg with alpha
v_mul_f32 v[vgprValuC+230], s[sgprAlpha], v[vgprValuC+112] // Multiply MI out reg with alpha
v_mul_f32 v[vgprValuC+233], s[sgprAlpha], v[vgprValuC+65] // Multiply MI out reg with alpha
v_mul_f32 v[vgprValuC+236], s[sgprAlpha], v[vgprValuC+81] // Multiply MI out reg with alpha
v_mul_f32 v[vgprValuC+239], s[sgprAlpha], v[vgprValuC+97] // Multiply MI out reg with alpha
v_mul_f32 v[vgprValuC+242], s[sgprAlpha], v[vgprValuC+113] // Multiply MI out reg with alpha
v_mul_f32 v[vgprValuC+245], s[sgprAlpha], v[vgprValuC+66] // Multiply MI out reg with alpha
v_mul_f32 v[vgprValuC+248], s[sgprAlpha], v[vgprValuC+82] // Multiply MI out reg with alpha
v_mul_f32 v[vgprValuC+251], s[sgprAlpha], v[vgprValuC+98] // Multiply MI out reg with alpha
v_mul_f32 v[vgprValuC+254], s[sgprAlpha], v[vgprValuC+114] // Multiply MI out reg with alpha
s_waitcnt vmcnt(0)                                 // wait C

/* apply mask, calc new C and issue writes */
v_mov_b32 v135, 0xffff0000                         // mask for pack two bfloat16 element to 32bit
v_mov_b32 v136, 0x7fff0000                         // fp32 Nan
v_mov_b32 v137, 0x7fff                             // rounding bias for bfloat16
v_lshlrev_b32 v132, 16, v139                       // convert bf16 to fp32
_v_mac_f32 v[vgprValuC+140], v132, s[sgprBeta]     // finalSum = sum*alpha + C*beta
v_cmp_u_f32 s[52:53], v[vgprValuC+140], v[vgprValuC+140] // check Nan
v_bfe_u32 v134, v[vgprValuC+140], 16, 1            // Non-Nan case: store lsb of bf16
v_add3_u32 v134, v[vgprValuC+140], v134, v137      // Non-Nan case: add lsb and the increment for rounding
v_cndmask_b32 v[vgprValuC+140], v134, v136, s[52:53] // 
v_lshrrev_b32 v[vgprValuC+140], 16, v[vgprValuC+140] // convert C to bf16
_buffer_store_b16 v140, v138, s[sgprSrdD:sgprSrdD+3], 0, offen, offset:0,  glc slc // store D
v_lshlrev_b32 v132, 16, v142                       // convert bf16 to fp32
_v_mac_f32 v[vgprValuC+143], v132, s[sgprBeta]     // finalSum = sum*alpha + C*beta
v_cmp_u_f32 s[52:53], v[vgprValuC+143], v[vgprValuC+143] // check Nan
v_bfe_u32 v134, v[vgprValuC+143], 16, 1            // Non-Nan case: store lsb of bf16
v_add3_u32 v134, v[vgprValuC+143], v134, v137      // Non-Nan case: add lsb and the increment for rounding
v_cndmask_b32 v[vgprValuC+143], v134, v136, s[52:53] // 
v_lshrrev_b32 v[vgprValuC+143], 16, v[vgprValuC+143] // convert C to bf16
_buffer_store_b16 v143, v141, s[sgprSrdD:sgprSrdD+3], 0, offen, offset:0,  glc slc // store D
	;; [unrolled: 8-line block ×38, first 2 shown]
s_nop 0                                            // 1 wait state required when next inst writes vgprs held by previous dwordx4 store inst
/* optSingleColVgpr=0 optSharedColVgpr=0 optSGPRUsage=BufferLoad_Edge_Mask optSrdIncForRow=0 */

/******************************************/
/* Global Write Alpha Beta Edge Batch #2 (d1,d0,vc1,vc0) = */
/*    (4,0,6,0:vw1); (4,0,6,1:vw1); (4,0,7,0:vw1); (4,0,7,1:vw1); (5,0,0,0:vw1); (5,0,0,1:vw1); (5,0,1,0:vw1); (5,0,1,1:vw1); (5,0,2,0:vw1); (5,0,2,1:vw1); (5,0,3,0:vw1); (5,0,3,1:vw1); (5,0,4,0:vw1); (5,0,4,1:vw1); (5,0,5,0:vw1); (5,0,5,1:vw1); (5,0,6,0:vw1); (5,0,6,1:vw1); (5,0,7,0:vw1); (5,0,7,1:vw1); (6,0,0,0:vw1); (6,0,0,1:vw1); (6,0,1,0:vw1); (6,0,1,1:vw1); (6,0,2,0:vw1); (6,0,2,1:vw1); (6,0,3,0:vw1); (6,0,3,1:vw1); (6,0,4,0:vw1); (6,0,4,1:vw1); (6,0,5,0:vw1); (6,0,5,1:vw1); (6,0,6,0:vw1); (6,0,6,1:vw1); (6,0,7,0:vw1); (6,0,7,1:vw1); (7,0,0,0:vw1); (7,0,0,1:vw1) */
/******************************************/

/* calc coords, apply mask, and issue loads (if necessary) */
/* (d1,vc1,d0,vc0)=(4,6,0,0) */
_v_add_co_u32 v129, vcc, v129, 1                   // coord1.1: coord1Vgpr += d1*sg1*VW + vc1

/* Fix for UseInitialStridesCD, emitAddressSetupCode */
_v_add_u32 v130, v130, s[sgprStrideC1J]            // ROWINC- Move cinRowPtr to next row
_v_add_u32 v131, v131, s[sgprStrideD1J]            // Move coutRowPtr to next row
v_cmp_lt_u32 s[52:53], v128, s[sgprSizeI]          // coord0 < size0
v_cmp_lt_u32 s[56:57], v129, s[sgprSizeJ]          // coord1 < size1
s_and_b64 s[56:57], s[52:53], s[56:57]             // in0 && in1
_v_add_lshl_u32 v138, v130, v128, 0x1              // scaleToBpe: accumulate d0 lower and *= bpe into Cin addr
v_cndmask_b32 v138, -1, v138, s[56:57]             // LDC clip if OOB. offset
_buffer_load_d16_b16 v139, v138, s[sgprSrdC:sgprSrdC+3], 0, offen offset:0,  glc slc // load C for beta calc
_v_add_lshl_u32 v138, v131, v128, 0x1              // scaleToBpe: accumulate d0 lower and *= bpe into Cin addr
v_cndmask_b32 v138, -1, v138, s[56:57]             // LDD clip if OOB. offset
/* (d1,vc1,d0,vc0)=(4,6,0,1) */
_v_add_co_u32 v132, vcc, v128, 1                   // coord0.1: coord0 += d0*sg0*VW + vc0
v_cmp_lt_u32 s[52:53], v132, s[sgprSizeI]          // coord0 < size0
v_cmp_lt_u32 s[56:57], v129, s[sgprSizeJ]          // coord1 < size1
s_and_b64 s[56:57], s[52:53], s[56:57]             // in0 && in1
_v_add_lshl_u32 v141, v130, v132, 0x1              // scaleToBpe: accumulate d0 lower and *= bpe into Cin addr
v_cndmask_b32 v141, -1, v141, s[56:57]             // LDC clip if OOB. offset
_buffer_load_d16_b16 v142, v141, s[sgprSrdC:sgprSrdC+3], 0, offen offset:0,  glc slc // load C for beta calc
_v_add_lshl_u32 v141, v131, v132, 0x1              // scaleToBpe: accumulate d0 lower and *= bpe into Cin addr
v_cndmask_b32 v141, -1, v141, s[56:57]             // LDD clip if OOB. offset
/* (d1,vc1,d0,vc0)=(4,7,0,0) */
_v_add_co_u32 v129, vcc, v129, 1                   // coord1.1: coord1Vgpr += d1*sg1*VW + vc1

/* Fix for UseInitialStridesCD, emitAddressSetupCode */
_v_add_u32 v130, v130, s[sgprStrideC1J]            // ROWINC- Move cinRowPtr to next row
_v_add_u32 v131, v131, s[sgprStrideD1J]            // Move coutRowPtr to next row
v_cmp_lt_u32 s[52:53], v128, s[sgprSizeI]          // coord0 < size0
v_cmp_lt_u32 s[56:57], v129, s[sgprSizeJ]          // coord1 < size1
s_and_b64 s[56:57], s[52:53], s[56:57]             // in0 && in1
_v_add_lshl_u32 v144, v130, v128, 0x1              // scaleToBpe: accumulate d0 lower and *= bpe into Cin addr
v_cndmask_b32 v144, -1, v144, s[56:57]             // LDC clip if OOB. offset
_buffer_load_d16_b16 v145, v144, s[sgprSrdC:sgprSrdC+3], 0, offen offset:0,  glc slc // load C for beta calc
_v_add_lshl_u32 v144, v131, v128, 0x1              // scaleToBpe: accumulate d0 lower and *= bpe into Cin addr
v_cndmask_b32 v144, -1, v144, s[56:57]             // LDD clip if OOB. offset
/* (d1,vc1,d0,vc0)=(4,7,0,1) */
_v_add_co_u32 v132, vcc, v128, 1                   // coord0.1: coord0 += d0*sg0*VW + vc0
v_cmp_lt_u32 s[52:53], v132, s[sgprSizeI]          // coord0 < size0
v_cmp_lt_u32 s[56:57], v129, s[sgprSizeJ]          // coord1 < size1
s_and_b64 s[56:57], s[52:53], s[56:57]             // in0 && in1
_v_add_lshl_u32 v147, v130, v132, 0x1              // scaleToBpe: accumulate d0 lower and *= bpe into Cin addr
v_cndmask_b32 v147, -1, v147, s[56:57]             // LDC clip if OOB. offset
_buffer_load_d16_b16 v148, v147, s[sgprSrdC:sgprSrdC+3], 0, offen offset:0,  glc slc // load C for beta calc
_v_add_lshl_u32 v147, v131, v132, 0x1              // scaleToBpe: accumulate d0 lower and *= bpe into Cin addr
v_cndmask_b32 v147, -1, v147, s[56:57]             // LDD clip if OOB. offset
/* (d1,vc1,d0,vc0)=(5,0,0,0) */
_v_add_co_u32 v129, vcc, v129, 9                   // coord1.1: coord1Vgpr += d1*sg1*VW + vc1

/* Fix for UseInitialStridesCD, emitAddressSetupCode */
s_mul_i32 s52, s[sgprStrideC1J], 9                 // scale stride
_v_add_u32 v130, v130, s52                         // ROWINC- Move cinRowPtr to next row
s_mul_i32 s52, s[sgprStrideD1J], 9                 // scale stride
_v_add_u32 v131, v131, s52                         // Move coutRowPtr to next row
v_cmp_lt_u32 s[52:53], v128, s[sgprSizeI]          // coord0 < size0
v_cmp_lt_u32 s[56:57], v129, s[sgprSizeJ]          // coord1 < size1
s_and_b64 s[56:57], s[52:53], s[56:57]             // in0 && in1
_v_add_lshl_u32 v150, v130, v128, 0x1              // scaleToBpe: accumulate d0 lower and *= bpe into Cin addr
v_cndmask_b32 v150, -1, v150, s[56:57]             // LDC clip if OOB. offset
_buffer_load_d16_b16 v151, v150, s[sgprSrdC:sgprSrdC+3], 0, offen offset:0,  glc slc // load C for beta calc
_v_add_lshl_u32 v150, v131, v128, 0x1              // scaleToBpe: accumulate d0 lower and *= bpe into Cin addr
v_cndmask_b32 v150, -1, v150, s[56:57]             // LDD clip if OOB. offset
/* (d1,vc1,d0,vc0)=(5,0,0,1) */
_v_add_co_u32 v132, vcc, v128, 1                   // coord0.1: coord0 += d0*sg0*VW + vc0
v_cmp_lt_u32 s[52:53], v132, s[sgprSizeI]          // coord0 < size0
v_cmp_lt_u32 s[56:57], v129, s[sgprSizeJ]          // coord1 < size1
s_and_b64 s[56:57], s[52:53], s[56:57]             // in0 && in1
_v_add_lshl_u32 v153, v130, v132, 0x1              // scaleToBpe: accumulate d0 lower and *= bpe into Cin addr
v_cndmask_b32 v153, -1, v153, s[56:57]             // LDC clip if OOB. offset
_buffer_load_d16_b16 v154, v153, s[sgprSrdC:sgprSrdC+3], 0, offen offset:0,  glc slc // load C for beta calc
_v_add_lshl_u32 v153, v131, v132, 0x1              // scaleToBpe: accumulate d0 lower and *= bpe into Cin addr
v_cndmask_b32 v153, -1, v153, s[56:57]             // LDD clip if OOB. offset
/* (d1,vc1,d0,vc0)=(5,1,0,0) */
_v_add_co_u32 v129, vcc, v129, 1                   // coord1.1: coord1Vgpr += d1*sg1*VW + vc1

/* Fix for UseInitialStridesCD, emitAddressSetupCode */
_v_add_u32 v130, v130, s[sgprStrideC1J]            // ROWINC- Move cinRowPtr to next row
_v_add_u32 v131, v131, s[sgprStrideD1J]            // Move coutRowPtr to next row
v_cmp_lt_u32 s[52:53], v128, s[sgprSizeI]          // coord0 < size0
v_cmp_lt_u32 s[56:57], v129, s[sgprSizeJ]          // coord1 < size1
s_and_b64 s[56:57], s[52:53], s[56:57]             // in0 && in1
_v_add_lshl_u32 v156, v130, v128, 0x1              // scaleToBpe: accumulate d0 lower and *= bpe into Cin addr
v_cndmask_b32 v156, -1, v156, s[56:57]             // LDC clip if OOB. offset
_buffer_load_d16_b16 v157, v156, s[sgprSrdC:sgprSrdC+3], 0, offen offset:0,  glc slc // load C for beta calc
_v_add_lshl_u32 v156, v131, v128, 0x1              // scaleToBpe: accumulate d0 lower and *= bpe into Cin addr
v_cndmask_b32 v156, -1, v156, s[56:57]             // LDD clip if OOB. offset
/* (d1,vc1,d0,vc0)=(5,1,0,1) */
_v_add_co_u32 v132, vcc, v128, 1                   // coord0.1: coord0 += d0*sg0*VW + vc0
v_cmp_lt_u32 s[52:53], v132, s[sgprSizeI]          // coord0 < size0
v_cmp_lt_u32 s[56:57], v129, s[sgprSizeJ]          // coord1 < size1
s_and_b64 s[56:57], s[52:53], s[56:57]             // in0 && in1
_v_add_lshl_u32 v159, v130, v132, 0x1              // scaleToBpe: accumulate d0 lower and *= bpe into Cin addr
v_cndmask_b32 v159, -1, v159, s[56:57]             // LDC clip if OOB. offset
_buffer_load_d16_b16 v160, v159, s[sgprSrdC:sgprSrdC+3], 0, offen offset:0,  glc slc // load C for beta calc
_v_add_lshl_u32 v159, v131, v132, 0x1              // scaleToBpe: accumulate d0 lower and *= bpe into Cin addr
v_cndmask_b32 v159, -1, v159, s[56:57]             // LDD clip if OOB. offset
/* (d1,vc1,d0,vc0)=(5,2,0,0) */
_v_add_co_u32 v129, vcc, v129, 1                   // coord1.1: coord1Vgpr += d1*sg1*VW + vc1

/* Fix for UseInitialStridesCD, emitAddressSetupCode */
_v_add_u32 v130, v130, s[sgprStrideC1J]            // ROWINC- Move cinRowPtr to next row
_v_add_u32 v131, v131, s[sgprStrideD1J]            // Move coutRowPtr to next row
	;; [unrolled: 24-line block ×7, first 2 shown]
v_cmp_lt_u32 s[52:53], v128, s[sgprSizeI]          // coord0 < size0
v_cmp_lt_u32 s[56:57], v129, s[sgprSizeJ]          // coord1 < size1
s_and_b64 s[56:57], s[52:53], s[56:57]             // in0 && in1
_v_add_lshl_u32 v192, v130, v128, 0x1              // scaleToBpe: accumulate d0 lower and *= bpe into Cin addr
v_cndmask_b32 v192, -1, v192, s[56:57]             // LDC clip if OOB. offset
_buffer_load_d16_b16 v193, v192, s[sgprSrdC:sgprSrdC+3], 0, offen offset:0,  glc slc // load C for beta calc
_v_add_lshl_u32 v192, v131, v128, 0x1              // scaleToBpe: accumulate d0 lower and *= bpe into Cin addr
v_cndmask_b32 v192, -1, v192, s[56:57]             // LDD clip if OOB. offset
/* (d1,vc1,d0,vc0)=(5,7,0,1) */
_v_add_co_u32 v132, vcc, v128, 1                   // coord0.1: coord0 += d0*sg0*VW + vc0
v_cmp_lt_u32 s[52:53], v132, s[sgprSizeI]          // coord0 < size0
v_cmp_lt_u32 s[56:57], v129, s[sgprSizeJ]          // coord1 < size1
s_and_b64 s[56:57], s[52:53], s[56:57]             // in0 && in1
_v_add_lshl_u32 v195, v130, v132, 0x1              // scaleToBpe: accumulate d0 lower and *= bpe into Cin addr
v_cndmask_b32 v195, -1, v195, s[56:57]             // LDC clip if OOB. offset
_buffer_load_d16_b16 v196, v195, s[sgprSrdC:sgprSrdC+3], 0, offen offset:0,  glc slc // load C for beta calc
_v_add_lshl_u32 v195, v131, v132, 0x1              // scaleToBpe: accumulate d0 lower and *= bpe into Cin addr
v_cndmask_b32 v195, -1, v195, s[56:57]             // LDD clip if OOB. offset
/* (d1,vc1,d0,vc0)=(6,0,0,0) */
_v_add_co_u32 v129, vcc, v129, 9                   // coord1.1: coord1Vgpr += d1*sg1*VW + vc1

/* Fix for UseInitialStridesCD, emitAddressSetupCode */
s_mul_i32 s52, s[sgprStrideC1J], 9                 // scale stride
_v_add_u32 v130, v130, s52                         // ROWINC- Move cinRowPtr to next row
s_mul_i32 s52, s[sgprStrideD1J], 9                 // scale stride
_v_add_u32 v131, v131, s52                         // Move coutRowPtr to next row
v_cmp_lt_u32 s[52:53], v128, s[sgprSizeI]          // coord0 < size0
v_cmp_lt_u32 s[56:57], v129, s[sgprSizeJ]          // coord1 < size1
s_and_b64 s[56:57], s[52:53], s[56:57]             // in0 && in1
_v_add_lshl_u32 v198, v130, v128, 0x1              // scaleToBpe: accumulate d0 lower and *= bpe into Cin addr
v_cndmask_b32 v198, -1, v198, s[56:57]             // LDC clip if OOB. offset
_buffer_load_d16_b16 v199, v198, s[sgprSrdC:sgprSrdC+3], 0, offen offset:0,  glc slc // load C for beta calc
_v_add_lshl_u32 v198, v131, v128, 0x1              // scaleToBpe: accumulate d0 lower and *= bpe into Cin addr
v_cndmask_b32 v198, -1, v198, s[56:57]             // LDD clip if OOB. offset
/* (d1,vc1,d0,vc0)=(6,0,0,1) */
_v_add_co_u32 v132, vcc, v128, 1                   // coord0.1: coord0 += d0*sg0*VW + vc0
v_cmp_lt_u32 s[52:53], v132, s[sgprSizeI]          // coord0 < size0
v_cmp_lt_u32 s[56:57], v129, s[sgprSizeJ]          // coord1 < size1
s_and_b64 s[56:57], s[52:53], s[56:57]             // in0 && in1
_v_add_lshl_u32 v201, v130, v132, 0x1              // scaleToBpe: accumulate d0 lower and *= bpe into Cin addr
v_cndmask_b32 v201, -1, v201, s[56:57]             // LDC clip if OOB. offset
_buffer_load_d16_b16 v202, v201, s[sgprSrdC:sgprSrdC+3], 0, offen offset:0,  glc slc // load C for beta calc
_v_add_lshl_u32 v201, v131, v132, 0x1              // scaleToBpe: accumulate d0 lower and *= bpe into Cin addr
v_cndmask_b32 v201, -1, v201, s[56:57]             // LDD clip if OOB. offset
/* (d1,vc1,d0,vc0)=(6,1,0,0) */
_v_add_co_u32 v129, vcc, v129, 1                   // coord1.1: coord1Vgpr += d1*sg1*VW + vc1

/* Fix for UseInitialStridesCD, emitAddressSetupCode */
_v_add_u32 v130, v130, s[sgprStrideC1J]            // ROWINC- Move cinRowPtr to next row
_v_add_u32 v131, v131, s[sgprStrideD1J]            // Move coutRowPtr to next row
v_cmp_lt_u32 s[52:53], v128, s[sgprSizeI]          // coord0 < size0
v_cmp_lt_u32 s[56:57], v129, s[sgprSizeJ]          // coord1 < size1
s_and_b64 s[56:57], s[52:53], s[56:57]             // in0 && in1
_v_add_lshl_u32 v204, v130, v128, 0x1              // scaleToBpe: accumulate d0 lower and *= bpe into Cin addr
v_cndmask_b32 v204, -1, v204, s[56:57]             // LDC clip if OOB. offset
_buffer_load_d16_b16 v205, v204, s[sgprSrdC:sgprSrdC+3], 0, offen offset:0,  glc slc // load C for beta calc
_v_add_lshl_u32 v204, v131, v128, 0x1              // scaleToBpe: accumulate d0 lower and *= bpe into Cin addr
v_cndmask_b32 v204, -1, v204, s[56:57]             // LDD clip if OOB. offset
/* (d1,vc1,d0,vc0)=(6,1,0,1) */
_v_add_co_u32 v132, vcc, v128, 1                   // coord0.1: coord0 += d0*sg0*VW + vc0
v_cmp_lt_u32 s[52:53], v132, s[sgprSizeI]          // coord0 < size0
v_cmp_lt_u32 s[56:57], v129, s[sgprSizeJ]          // coord1 < size1
s_and_b64 s[56:57], s[52:53], s[56:57]             // in0 && in1
_v_add_lshl_u32 v207, v130, v132, 0x1              // scaleToBpe: accumulate d0 lower and *= bpe into Cin addr
v_cndmask_b32 v207, -1, v207, s[56:57]             // LDC clip if OOB. offset
_buffer_load_d16_b16 v211, v207, s[sgprSrdC:sgprSrdC+3], 0, offen offset:0,  glc slc // load C for beta calc
_v_add_lshl_u32 v207, v131, v132, 0x1              // scaleToBpe: accumulate d0 lower and *= bpe into Cin addr
v_cndmask_b32 v207, -1, v207, s[56:57]             // LDD clip if OOB. offset
/* (d1,vc1,d0,vc0)=(6,2,0,0) */
_v_add_co_u32 v129, vcc, v129, 1                   // coord1.1: coord1Vgpr += d1*sg1*VW + vc1

/* Fix for UseInitialStridesCD, emitAddressSetupCode */
_v_add_u32 v130, v130, s[sgprStrideC1J]            // ROWINC- Move cinRowPtr to next row
_v_add_u32 v131, v131, s[sgprStrideD1J]            // Move coutRowPtr to next row
	;; [unrolled: 24-line block ×7, first 2 shown]
v_cmp_lt_u32 s[52:53], v128, s[sgprSizeI]          // coord0 < size0
v_cmp_lt_u32 s[56:57], v129, s[sgprSizeJ]          // coord1 < size1
s_and_b64 s[56:57], s[52:53], s[56:57]             // in0 && in1
_v_add_lshl_u32 v243, v130, v128, 0x1              // scaleToBpe: accumulate d0 lower and *= bpe into Cin addr
v_cndmask_b32 v243, -1, v243, s[56:57]             // LDC clip if OOB. offset
_buffer_load_d16_b16 v244, v243, s[sgprSrdC:sgprSrdC+3], 0, offen offset:0,  glc slc // load C for beta calc
_v_add_lshl_u32 v243, v131, v128, 0x1              // scaleToBpe: accumulate d0 lower and *= bpe into Cin addr
v_cndmask_b32 v243, -1, v243, s[56:57]             // LDD clip if OOB. offset
/* (d1,vc1,d0,vc0)=(6,7,0,1) */
_v_add_co_u32 v132, vcc, v128, 1                   // coord0.1: coord0 += d0*sg0*VW + vc0
v_cmp_lt_u32 s[52:53], v132, s[sgprSizeI]          // coord0 < size0
v_cmp_lt_u32 s[56:57], v129, s[sgprSizeJ]          // coord1 < size1
s_and_b64 s[56:57], s[52:53], s[56:57]             // in0 && in1
_v_add_lshl_u32 v246, v130, v132, 0x1              // scaleToBpe: accumulate d0 lower and *= bpe into Cin addr
v_cndmask_b32 v246, -1, v246, s[56:57]             // LDC clip if OOB. offset
_buffer_load_d16_b16 v247, v246, s[sgprSrdC:sgprSrdC+3], 0, offen offset:0,  glc slc // load C for beta calc
_v_add_lshl_u32 v246, v131, v132, 0x1              // scaleToBpe: accumulate d0 lower and *= bpe into Cin addr
v_cndmask_b32 v246, -1, v246, s[56:57]             // LDD clip if OOB. offset
/* (d1,vc1,d0,vc0)=(7,0,0,0) */
_v_add_co_u32 v129, vcc, v129, 9                   // coord1.1: coord1Vgpr += d1*sg1*VW + vc1

/* Fix for UseInitialStridesCD, emitAddressSetupCode */
s_mul_i32 s52, s[sgprStrideC1J], 9                 // scale stride
_v_add_u32 v130, v130, s52                         // ROWINC- Move cinRowPtr to next row
s_mul_i32 s52, s[sgprStrideD1J], 9                 // scale stride
_v_add_u32 v131, v131, s52                         // Move coutRowPtr to next row
v_cmp_lt_u32 s[52:53], v128, s[sgprSizeI]          // coord0 < size0
v_cmp_lt_u32 s[56:57], v129, s[sgprSizeJ]          // coord1 < size1
s_and_b64 s[56:57], s[52:53], s[56:57]             // in0 && in1
_v_add_lshl_u32 v249, v130, v128, 0x1              // scaleToBpe: accumulate d0 lower and *= bpe into Cin addr
v_cndmask_b32 v249, -1, v249, s[56:57]             // LDC clip if OOB. offset
_buffer_load_d16_b16 v250, v249, s[sgprSrdC:sgprSrdC+3], 0, offen offset:0,  glc slc // load C for beta calc
_v_add_lshl_u32 v249, v131, v128, 0x1              // scaleToBpe: accumulate d0 lower and *= bpe into Cin addr
v_cndmask_b32 v249, -1, v249, s[56:57]             // LDD clip if OOB. offset
/* (d1,vc1,d0,vc0)=(7,0,0,1) */
_v_add_co_u32 v132, vcc, v128, 1                   // coord0.1: coord0 += d0*sg0*VW + vc0
v_cmp_lt_u32 s[52:53], v132, s[sgprSizeI]          // coord0 < size0
v_cmp_lt_u32 s[56:57], v129, s[sgprSizeJ]          // coord1 < size1
s_and_b64 s[56:57], s[52:53], s[56:57]             // in0 && in1
_v_add_lshl_u32 v252, v130, v132, 0x1              // scaleToBpe: accumulate d0 lower and *= bpe into Cin addr
v_cndmask_b32 v252, -1, v252, s[56:57]             // LDC clip if OOB. offset
_buffer_load_d16_b16 v253, v252, s[sgprSrdC:sgprSrdC+3], 0, offen offset:0,  glc slc // load C for beta calc
_v_add_lshl_u32 v252, v131, v132, 0x1              // scaleToBpe: accumulate d0 lower and *= bpe into Cin addr
v_cndmask_b32 v252, -1, v252, s[56:57]             // LDD clip if OOB. offset

/* rC *= alpha batchElements=[(4, 0, 6, 0), (4, 0, 6, 1), (4, 0, 7, 0), (4, 0, 7, 1), (5, 0, 0, 0), (5, 0, 0, 1), (5, 0, 1, 0), (5, 0, 1, 1), (5, 0, 2, 0), (5, 0, 2, 1), (5, 0, 3, 0), (5, 0, 3, 1), (5, 0, 4, 0), (5, 0, 4, 1), (5, 0, 5, 0), (5, 0, 5, 1), (5, 0, 6, 0), (5, 0, 6, 1), (5, 0, 7, 0), (5, 0, 7, 1), (6, 0, 0, 0), (6, 0, 0, 1), (6, 0, 1, 0), (6, 0, 1, 1), (6, 0, 2, 0), (6, 0, 2, 1), (6, 0, 3, 0), (6, 0, 3, 1), (6, 0, 4, 0), (6, 0, 4, 1), (6, 0, 5, 0), (6, 0, 5, 1), (6, 0, 6, 0), (6, 0, 6, 1), (6, 0, 7, 0), (6, 0, 7, 1), (7, 0, 0, 0), (7, 0, 0, 1)] */
v_mul_f32 v[vgprValuC+140], s[sgprAlpha], v[vgprValuC+67] // Multiply MI out reg with alpha
v_mul_f32 v[vgprValuC+143], s[sgprAlpha], v[vgprValuC+83] // Multiply MI out reg with alpha
	;; [unrolled: 1-line block ×38, first 2 shown]
s_waitcnt vmcnt(0)                                 // wait C

/* apply mask, calc new C and issue writes */
v_mov_b32 v135, 0xffff0000                         // mask for pack two bfloat16 element to 32bit
v_mov_b32 v136, 0x7fff0000                         // fp32 Nan
v_mov_b32 v137, 0x7fff                             // rounding bias for bfloat16
v_lshlrev_b32 v132, 16, v139                       // convert bf16 to fp32
_v_mac_f32 v[vgprValuC+140], v132, s[sgprBeta]     // finalSum = sum*alpha + C*beta
v_cmp_u_f32 s[52:53], v[vgprValuC+140], v[vgprValuC+140] // check Nan
v_bfe_u32 v134, v[vgprValuC+140], 16, 1            // Non-Nan case: store lsb of bf16
v_add3_u32 v134, v[vgprValuC+140], v134, v137      // Non-Nan case: add lsb and the increment for rounding
v_cndmask_b32 v[vgprValuC+140], v134, v136, s[52:53] // 
v_lshrrev_b32 v[vgprValuC+140], 16, v[vgprValuC+140] // convert C to bf16
_buffer_store_b16 v140, v138, s[sgprSrdD:sgprSrdD+3], 0, offen, offset:0,  glc slc // store D
v_lshlrev_b32 v132, 16, v142                       // convert bf16 to fp32
_v_mac_f32 v[vgprValuC+143], v132, s[sgprBeta]     // finalSum = sum*alpha + C*beta
v_cmp_u_f32 s[52:53], v[vgprValuC+143], v[vgprValuC+143] // check Nan
v_bfe_u32 v134, v[vgprValuC+143], 16, 1            // Non-Nan case: store lsb of bf16
v_add3_u32 v134, v[vgprValuC+143], v134, v137      // Non-Nan case: add lsb and the increment for rounding
v_cndmask_b32 v[vgprValuC+143], v134, v136, s[52:53] // 
v_lshrrev_b32 v[vgprValuC+143], 16, v[vgprValuC+143] // convert C to bf16
_buffer_store_b16 v143, v141, s[sgprSrdD:sgprSrdD+3], 0, offen, offset:0,  glc slc // store D
v_lshlrev_b32 v132, 16, v145                       // convert bf16 to fp32
_v_mac_f32 v[vgprValuC+146], v132, s[sgprBeta]     // finalSum = sum*alpha + C*beta
v_cmp_u_f32 s[52:53], v[vgprValuC+146], v[vgprValuC+146] // check Nan
v_bfe_u32 v134, v[vgprValuC+146], 16, 1            // Non-Nan case: store lsb of bf16
v_add3_u32 v134, v[vgprValuC+146], v134, v137      // Non-Nan case: add lsb and the increment for rounding
v_cndmask_b32 v[vgprValuC+146], v134, v136, s[52:53] // 
v_lshrrev_b32 v[vgprValuC+146], 16, v[vgprValuC+146] // convert C to bf16
_buffer_store_b16 v146, v144, s[sgprSrdD:sgprSrdD+3], 0, offen, offset:0,  glc slc // store D
v_lshlrev_b32 v132, 16, v148                       // convert bf16 to fp32
_v_mac_f32 v[vgprValuC+149], v132, s[sgprBeta]     // finalSum = sum*alpha + C*beta
v_cmp_u_f32 s[52:53], v[vgprValuC+149], v[vgprValuC+149] // check Nan
v_bfe_u32 v134, v[vgprValuC+149], 16, 1            // Non-Nan case: store lsb of bf16
v_add3_u32 v134, v[vgprValuC+149], v134, v137      // Non-Nan case: add lsb and the increment for rounding
v_cndmask_b32 v[vgprValuC+149], v134, v136, s[52:53] // 
v_lshrrev_b32 v[vgprValuC+149], 16, v[vgprValuC+149] // convert C to bf16
_buffer_store_b16 v149, v147, s[sgprSrdD:sgprSrdD+3], 0, offen, offset:0,  glc slc // store D
v_lshlrev_b32 v132, 16, v151                       // convert bf16 to fp32
_v_mac_f32 v[vgprValuC+152], v132, s[sgprBeta]     // finalSum = sum*alpha + C*beta
v_cmp_u_f32 s[52:53], v[vgprValuC+152], v[vgprValuC+152] // check Nan
v_bfe_u32 v134, v[vgprValuC+152], 16, 1            // Non-Nan case: store lsb of bf16
v_add3_u32 v134, v[vgprValuC+152], v134, v137      // Non-Nan case: add lsb and the increment for rounding
v_cndmask_b32 v[vgprValuC+152], v134, v136, s[52:53] // 
v_lshrrev_b32 v[vgprValuC+152], 16, v[vgprValuC+152] // convert C to bf16
_buffer_store_b16 v152, v150, s[sgprSrdD:sgprSrdD+3], 0, offen, offset:0,  glc slc // store D
v_lshlrev_b32 v132, 16, v154                       // convert bf16 to fp32
_v_mac_f32 v[vgprValuC+155], v132, s[sgprBeta]     // finalSum = sum*alpha + C*beta
v_cmp_u_f32 s[52:53], v[vgprValuC+155], v[vgprValuC+155] // check Nan
v_bfe_u32 v134, v[vgprValuC+155], 16, 1            // Non-Nan case: store lsb of bf16
v_add3_u32 v134, v[vgprValuC+155], v134, v137      // Non-Nan case: add lsb and the increment for rounding
v_cndmask_b32 v[vgprValuC+155], v134, v136, s[52:53] // 
v_lshrrev_b32 v[vgprValuC+155], 16, v[vgprValuC+155] // convert C to bf16
_buffer_store_b16 v155, v153, s[sgprSrdD:sgprSrdD+3], 0, offen, offset:0,  glc slc // store D
v_lshlrev_b32 v132, 16, v157                       // convert bf16 to fp32
_v_mac_f32 v[vgprValuC+158], v132, s[sgprBeta]     // finalSum = sum*alpha + C*beta
v_cmp_u_f32 s[52:53], v[vgprValuC+158], v[vgprValuC+158] // check Nan
v_bfe_u32 v134, v[vgprValuC+158], 16, 1            // Non-Nan case: store lsb of bf16
v_add3_u32 v134, v[vgprValuC+158], v134, v137      // Non-Nan case: add lsb and the increment for rounding
v_cndmask_b32 v[vgprValuC+158], v134, v136, s[52:53] // 
v_lshrrev_b32 v[vgprValuC+158], 16, v[vgprValuC+158] // convert C to bf16
_buffer_store_b16 v158, v156, s[sgprSrdD:sgprSrdD+3], 0, offen, offset:0,  glc slc // store D
v_lshlrev_b32 v132, 16, v160                       // convert bf16 to fp32
_v_mac_f32 v[vgprValuC+161], v132, s[sgprBeta]     // finalSum = sum*alpha + C*beta
v_cmp_u_f32 s[52:53], v[vgprValuC+161], v[vgprValuC+161] // check Nan
v_bfe_u32 v134, v[vgprValuC+161], 16, 1            // Non-Nan case: store lsb of bf16
v_add3_u32 v134, v[vgprValuC+161], v134, v137      // Non-Nan case: add lsb and the increment for rounding
v_cndmask_b32 v[vgprValuC+161], v134, v136, s[52:53] // 
v_lshrrev_b32 v[vgprValuC+161], 16, v[vgprValuC+161] // convert C to bf16
_buffer_store_b16 v161, v159, s[sgprSrdD:sgprSrdD+3], 0, offen, offset:0,  glc slc // store D
v_lshlrev_b32 v132, 16, v163                       // convert bf16 to fp32
_v_mac_f32 v[vgprValuC+164], v132, s[sgprBeta]     // finalSum = sum*alpha + C*beta
v_cmp_u_f32 s[52:53], v[vgprValuC+164], v[vgprValuC+164] // check Nan
v_bfe_u32 v134, v[vgprValuC+164], 16, 1            // Non-Nan case: store lsb of bf16
v_add3_u32 v134, v[vgprValuC+164], v134, v137      // Non-Nan case: add lsb and the increment for rounding
v_cndmask_b32 v[vgprValuC+164], v134, v136, s[52:53] // 
v_lshrrev_b32 v[vgprValuC+164], 16, v[vgprValuC+164] // convert C to bf16
_buffer_store_b16 v164, v162, s[sgprSrdD:sgprSrdD+3], 0, offen, offset:0,  glc slc // store D
v_lshlrev_b32 v132, 16, v166                       // convert bf16 to fp32
_v_mac_f32 v[vgprValuC+167], v132, s[sgprBeta]     // finalSum = sum*alpha + C*beta
v_cmp_u_f32 s[52:53], v[vgprValuC+167], v[vgprValuC+167] // check Nan
v_bfe_u32 v134, v[vgprValuC+167], 16, 1            // Non-Nan case: store lsb of bf16
v_add3_u32 v134, v[vgprValuC+167], v134, v137      // Non-Nan case: add lsb and the increment for rounding
v_cndmask_b32 v[vgprValuC+167], v134, v136, s[52:53] // 
v_lshrrev_b32 v[vgprValuC+167], 16, v[vgprValuC+167] // convert C to bf16
_buffer_store_b16 v167, v165, s[sgprSrdD:sgprSrdD+3], 0, offen, offset:0,  glc slc // store D
v_lshlrev_b32 v132, 16, v169                       // convert bf16 to fp32
_v_mac_f32 v[vgprValuC+170], v132, s[sgprBeta]     // finalSum = sum*alpha + C*beta
v_cmp_u_f32 s[52:53], v[vgprValuC+170], v[vgprValuC+170] // check Nan
v_bfe_u32 v134, v[vgprValuC+170], 16, 1            // Non-Nan case: store lsb of bf16
v_add3_u32 v134, v[vgprValuC+170], v134, v137      // Non-Nan case: add lsb and the increment for rounding
v_cndmask_b32 v[vgprValuC+170], v134, v136, s[52:53] // 
v_lshrrev_b32 v[vgprValuC+170], 16, v[vgprValuC+170] // convert C to bf16
_buffer_store_b16 v170, v168, s[sgprSrdD:sgprSrdD+3], 0, offen, offset:0,  glc slc // store D
v_lshlrev_b32 v132, 16, v172                       // convert bf16 to fp32
_v_mac_f32 v[vgprValuC+173], v132, s[sgprBeta]     // finalSum = sum*alpha + C*beta
v_cmp_u_f32 s[52:53], v[vgprValuC+173], v[vgprValuC+173] // check Nan
v_bfe_u32 v134, v[vgprValuC+173], 16, 1            // Non-Nan case: store lsb of bf16
v_add3_u32 v134, v[vgprValuC+173], v134, v137      // Non-Nan case: add lsb and the increment for rounding
v_cndmask_b32 v[vgprValuC+173], v134, v136, s[52:53] // 
v_lshrrev_b32 v[vgprValuC+173], 16, v[vgprValuC+173] // convert C to bf16
_buffer_store_b16 v173, v171, s[sgprSrdD:sgprSrdD+3], 0, offen, offset:0,  glc slc // store D
v_lshlrev_b32 v132, 16, v175                       // convert bf16 to fp32
_v_mac_f32 v[vgprValuC+176], v132, s[sgprBeta]     // finalSum = sum*alpha + C*beta
v_cmp_u_f32 s[52:53], v[vgprValuC+176], v[vgprValuC+176] // check Nan
v_bfe_u32 v134, v[vgprValuC+176], 16, 1            // Non-Nan case: store lsb of bf16
v_add3_u32 v134, v[vgprValuC+176], v134, v137      // Non-Nan case: add lsb and the increment for rounding
v_cndmask_b32 v[vgprValuC+176], v134, v136, s[52:53] // 
v_lshrrev_b32 v[vgprValuC+176], 16, v[vgprValuC+176] // convert C to bf16
_buffer_store_b16 v176, v174, s[sgprSrdD:sgprSrdD+3], 0, offen, offset:0,  glc slc // store D
v_lshlrev_b32 v132, 16, v178                       // convert bf16 to fp32
_v_mac_f32 v[vgprValuC+179], v132, s[sgprBeta]     // finalSum = sum*alpha + C*beta
v_cmp_u_f32 s[52:53], v[vgprValuC+179], v[vgprValuC+179] // check Nan
v_bfe_u32 v134, v[vgprValuC+179], 16, 1            // Non-Nan case: store lsb of bf16
v_add3_u32 v134, v[vgprValuC+179], v134, v137      // Non-Nan case: add lsb and the increment for rounding
v_cndmask_b32 v[vgprValuC+179], v134, v136, s[52:53] // 
v_lshrrev_b32 v[vgprValuC+179], 16, v[vgprValuC+179] // convert C to bf16
_buffer_store_b16 v179, v177, s[sgprSrdD:sgprSrdD+3], 0, offen, offset:0,  glc slc // store D
v_lshlrev_b32 v132, 16, v181                       // convert bf16 to fp32
_v_mac_f32 v[vgprValuC+182], v132, s[sgprBeta]     // finalSum = sum*alpha + C*beta
v_cmp_u_f32 s[52:53], v[vgprValuC+182], v[vgprValuC+182] // check Nan
v_bfe_u32 v134, v[vgprValuC+182], 16, 1            // Non-Nan case: store lsb of bf16
v_add3_u32 v134, v[vgprValuC+182], v134, v137      // Non-Nan case: add lsb and the increment for rounding
v_cndmask_b32 v[vgprValuC+182], v134, v136, s[52:53] // 
v_lshrrev_b32 v[vgprValuC+182], 16, v[vgprValuC+182] // convert C to bf16
_buffer_store_b16 v182, v180, s[sgprSrdD:sgprSrdD+3], 0, offen, offset:0,  glc slc // store D
v_lshlrev_b32 v132, 16, v184                       // convert bf16 to fp32
_v_mac_f32 v[vgprValuC+185], v132, s[sgprBeta]     // finalSum = sum*alpha + C*beta
v_cmp_u_f32 s[52:53], v[vgprValuC+185], v[vgprValuC+185] // check Nan
v_bfe_u32 v134, v[vgprValuC+185], 16, 1            // Non-Nan case: store lsb of bf16
v_add3_u32 v134, v[vgprValuC+185], v134, v137      // Non-Nan case: add lsb and the increment for rounding
v_cndmask_b32 v[vgprValuC+185], v134, v136, s[52:53] // 
v_lshrrev_b32 v[vgprValuC+185], 16, v[vgprValuC+185] // convert C to bf16
_buffer_store_b16 v185, v183, s[sgprSrdD:sgprSrdD+3], 0, offen, offset:0,  glc slc // store D
v_lshlrev_b32 v132, 16, v187                       // convert bf16 to fp32
_v_mac_f32 v[vgprValuC+188], v132, s[sgprBeta]     // finalSum = sum*alpha + C*beta
v_cmp_u_f32 s[52:53], v[vgprValuC+188], v[vgprValuC+188] // check Nan
v_bfe_u32 v134, v[vgprValuC+188], 16, 1            // Non-Nan case: store lsb of bf16
v_add3_u32 v134, v[vgprValuC+188], v134, v137      // Non-Nan case: add lsb and the increment for rounding
v_cndmask_b32 v[vgprValuC+188], v134, v136, s[52:53] // 
v_lshrrev_b32 v[vgprValuC+188], 16, v[vgprValuC+188] // convert C to bf16
_buffer_store_b16 v188, v186, s[sgprSrdD:sgprSrdD+3], 0, offen, offset:0,  glc slc // store D
v_lshlrev_b32 v132, 16, v190                       // convert bf16 to fp32
_v_mac_f32 v[vgprValuC+191], v132, s[sgprBeta]     // finalSum = sum*alpha + C*beta
v_cmp_u_f32 s[52:53], v[vgprValuC+191], v[vgprValuC+191] // check Nan
v_bfe_u32 v134, v[vgprValuC+191], 16, 1            // Non-Nan case: store lsb of bf16
v_add3_u32 v134, v[vgprValuC+191], v134, v137      // Non-Nan case: add lsb and the increment for rounding
v_cndmask_b32 v[vgprValuC+191], v134, v136, s[52:53] // 
v_lshrrev_b32 v[vgprValuC+191], 16, v[vgprValuC+191] // convert C to bf16
_buffer_store_b16 v191, v189, s[sgprSrdD:sgprSrdD+3], 0, offen, offset:0,  glc slc // store D
v_lshlrev_b32 v132, 16, v193                       // convert bf16 to fp32
_v_mac_f32 v[vgprValuC+194], v132, s[sgprBeta]     // finalSum = sum*alpha + C*beta
v_cmp_u_f32 s[52:53], v[vgprValuC+194], v[vgprValuC+194] // check Nan
v_bfe_u32 v134, v[vgprValuC+194], 16, 1            // Non-Nan case: store lsb of bf16
v_add3_u32 v134, v[vgprValuC+194], v134, v137      // Non-Nan case: add lsb and the increment for rounding
v_cndmask_b32 v[vgprValuC+194], v134, v136, s[52:53] // 
v_lshrrev_b32 v[vgprValuC+194], 16, v[vgprValuC+194] // convert C to bf16
_buffer_store_b16 v194, v192, s[sgprSrdD:sgprSrdD+3], 0, offen, offset:0,  glc slc // store D
v_lshlrev_b32 v132, 16, v196                       // convert bf16 to fp32
_v_mac_f32 v[vgprValuC+197], v132, s[sgprBeta]     // finalSum = sum*alpha + C*beta
v_cmp_u_f32 s[52:53], v[vgprValuC+197], v[vgprValuC+197] // check Nan
v_bfe_u32 v134, v[vgprValuC+197], 16, 1            // Non-Nan case: store lsb of bf16
v_add3_u32 v134, v[vgprValuC+197], v134, v137      // Non-Nan case: add lsb and the increment for rounding
v_cndmask_b32 v[vgprValuC+197], v134, v136, s[52:53] // 
v_lshrrev_b32 v[vgprValuC+197], 16, v[vgprValuC+197] // convert C to bf16
_buffer_store_b16 v197, v195, s[sgprSrdD:sgprSrdD+3], 0, offen, offset:0,  glc slc // store D
v_lshlrev_b32 v132, 16, v199                       // convert bf16 to fp32
_v_mac_f32 v[vgprValuC+200], v132, s[sgprBeta]     // finalSum = sum*alpha + C*beta
v_cmp_u_f32 s[52:53], v[vgprValuC+200], v[vgprValuC+200] // check Nan
v_bfe_u32 v134, v[vgprValuC+200], 16, 1            // Non-Nan case: store lsb of bf16
v_add3_u32 v134, v[vgprValuC+200], v134, v137      // Non-Nan case: add lsb and the increment for rounding
v_cndmask_b32 v[vgprValuC+200], v134, v136, s[52:53] // 
v_lshrrev_b32 v[vgprValuC+200], 16, v[vgprValuC+200] // convert C to bf16
_buffer_store_b16 v200, v198, s[sgprSrdD:sgprSrdD+3], 0, offen, offset:0,  glc slc // store D
v_lshlrev_b32 v132, 16, v202                       // convert bf16 to fp32
_v_mac_f32 v[vgprValuC+203], v132, s[sgprBeta]     // finalSum = sum*alpha + C*beta
v_cmp_u_f32 s[52:53], v[vgprValuC+203], v[vgprValuC+203] // check Nan
v_bfe_u32 v134, v[vgprValuC+203], 16, 1            // Non-Nan case: store lsb of bf16
v_add3_u32 v134, v[vgprValuC+203], v134, v137      // Non-Nan case: add lsb and the increment for rounding
v_cndmask_b32 v[vgprValuC+203], v134, v136, s[52:53] // 
v_lshrrev_b32 v[vgprValuC+203], 16, v[vgprValuC+203] // convert C to bf16
_buffer_store_b16 v203, v201, s[sgprSrdD:sgprSrdD+3], 0, offen, offset:0,  glc slc // store D
v_lshlrev_b32 v132, 16, v205                       // convert bf16 to fp32
_v_mac_f32 v[vgprValuC+206], v132, s[sgprBeta]     // finalSum = sum*alpha + C*beta
v_cmp_u_f32 s[52:53], v[vgprValuC+206], v[vgprValuC+206] // check Nan
v_bfe_u32 v134, v[vgprValuC+206], 16, 1            // Non-Nan case: store lsb of bf16
v_add3_u32 v134, v[vgprValuC+206], v134, v137      // Non-Nan case: add lsb and the increment for rounding
v_cndmask_b32 v[vgprValuC+206], v134, v136, s[52:53] // 
v_lshrrev_b32 v[vgprValuC+206], 16, v[vgprValuC+206] // convert C to bf16
_buffer_store_b16 v206, v204, s[sgprSrdD:sgprSrdD+3], 0, offen, offset:0,  glc slc // store D
v_lshlrev_b32 v132, 16, v211                       // convert bf16 to fp32
_v_mac_f32 v[vgprValuC+212], v132, s[sgprBeta]     // finalSum = sum*alpha + C*beta
v_cmp_u_f32 s[52:53], v[vgprValuC+212], v[vgprValuC+212] // check Nan
v_bfe_u32 v134, v[vgprValuC+212], 16, 1            // Non-Nan case: store lsb of bf16
v_add3_u32 v134, v[vgprValuC+212], v134, v137      // Non-Nan case: add lsb and the increment for rounding
v_cndmask_b32 v[vgprValuC+212], v134, v136, s[52:53] // 
v_lshrrev_b32 v[vgprValuC+212], 16, v[vgprValuC+212] // convert C to bf16
_buffer_store_b16 v212, v207, s[sgprSrdD:sgprSrdD+3], 0, offen, offset:0,  glc slc // store D
v_lshlrev_b32 v132, 16, v214                       // convert bf16 to fp32
_v_mac_f32 v[vgprValuC+215], v132, s[sgprBeta]     // finalSum = sum*alpha + C*beta
v_cmp_u_f32 s[52:53], v[vgprValuC+215], v[vgprValuC+215] // check Nan
v_bfe_u32 v134, v[vgprValuC+215], 16, 1            // Non-Nan case: store lsb of bf16
v_add3_u32 v134, v[vgprValuC+215], v134, v137      // Non-Nan case: add lsb and the increment for rounding
v_cndmask_b32 v[vgprValuC+215], v134, v136, s[52:53] // 
v_lshrrev_b32 v[vgprValuC+215], 16, v[vgprValuC+215] // convert C to bf16
_buffer_store_b16 v215, v213, s[sgprSrdD:sgprSrdD+3], 0, offen, offset:0,  glc slc // store D
v_lshlrev_b32 v132, 16, v217                       // convert bf16 to fp32
_v_mac_f32 v[vgprValuC+218], v132, s[sgprBeta]     // finalSum = sum*alpha + C*beta
v_cmp_u_f32 s[52:53], v[vgprValuC+218], v[vgprValuC+218] // check Nan
v_bfe_u32 v134, v[vgprValuC+218], 16, 1            // Non-Nan case: store lsb of bf16
v_add3_u32 v134, v[vgprValuC+218], v134, v137      // Non-Nan case: add lsb and the increment for rounding
v_cndmask_b32 v[vgprValuC+218], v134, v136, s[52:53] // 
v_lshrrev_b32 v[vgprValuC+218], 16, v[vgprValuC+218] // convert C to bf16
_buffer_store_b16 v218, v216, s[sgprSrdD:sgprSrdD+3], 0, offen, offset:0,  glc slc // store D
v_lshlrev_b32 v132, 16, v220                       // convert bf16 to fp32
_v_mac_f32 v[vgprValuC+221], v132, s[sgprBeta]     // finalSum = sum*alpha + C*beta
v_cmp_u_f32 s[52:53], v[vgprValuC+221], v[vgprValuC+221] // check Nan
v_bfe_u32 v134, v[vgprValuC+221], 16, 1            // Non-Nan case: store lsb of bf16
v_add3_u32 v134, v[vgprValuC+221], v134, v137      // Non-Nan case: add lsb and the increment for rounding
v_cndmask_b32 v[vgprValuC+221], v134, v136, s[52:53] // 
v_lshrrev_b32 v[vgprValuC+221], 16, v[vgprValuC+221] // convert C to bf16
_buffer_store_b16 v221, v219, s[sgprSrdD:sgprSrdD+3], 0, offen, offset:0,  glc slc // store D
v_lshlrev_b32 v132, 16, v223                       // convert bf16 to fp32
_v_mac_f32 v[vgprValuC+224], v132, s[sgprBeta]     // finalSum = sum*alpha + C*beta
v_cmp_u_f32 s[52:53], v[vgprValuC+224], v[vgprValuC+224] // check Nan
v_bfe_u32 v134, v[vgprValuC+224], 16, 1            // Non-Nan case: store lsb of bf16
v_add3_u32 v134, v[vgprValuC+224], v134, v137      // Non-Nan case: add lsb and the increment for rounding
v_cndmask_b32 v[vgprValuC+224], v134, v136, s[52:53] // 
v_lshrrev_b32 v[vgprValuC+224], 16, v[vgprValuC+224] // convert C to bf16
_buffer_store_b16 v224, v222, s[sgprSrdD:sgprSrdD+3], 0, offen, offset:0,  glc slc // store D
v_lshlrev_b32 v132, 16, v226                       // convert bf16 to fp32
_v_mac_f32 v[vgprValuC+227], v132, s[sgprBeta]     // finalSum = sum*alpha + C*beta
v_cmp_u_f32 s[52:53], v[vgprValuC+227], v[vgprValuC+227] // check Nan
v_bfe_u32 v134, v[vgprValuC+227], 16, 1            // Non-Nan case: store lsb of bf16
v_add3_u32 v134, v[vgprValuC+227], v134, v137      // Non-Nan case: add lsb and the increment for rounding
v_cndmask_b32 v[vgprValuC+227], v134, v136, s[52:53] // 
v_lshrrev_b32 v[vgprValuC+227], 16, v[vgprValuC+227] // convert C to bf16
_buffer_store_b16 v227, v225, s[sgprSrdD:sgprSrdD+3], 0, offen, offset:0,  glc slc // store D
v_lshlrev_b32 v132, 16, v229                       // convert bf16 to fp32
_v_mac_f32 v[vgprValuC+230], v132, s[sgprBeta]     // finalSum = sum*alpha + C*beta
v_cmp_u_f32 s[52:53], v[vgprValuC+230], v[vgprValuC+230] // check Nan
v_bfe_u32 v134, v[vgprValuC+230], 16, 1            // Non-Nan case: store lsb of bf16
v_add3_u32 v134, v[vgprValuC+230], v134, v137      // Non-Nan case: add lsb and the increment for rounding
v_cndmask_b32 v[vgprValuC+230], v134, v136, s[52:53] // 
v_lshrrev_b32 v[vgprValuC+230], 16, v[vgprValuC+230] // convert C to bf16
_buffer_store_b16 v230, v228, s[sgprSrdD:sgprSrdD+3], 0, offen, offset:0,  glc slc // store D
v_lshlrev_b32 v132, 16, v232                       // convert bf16 to fp32
_v_mac_f32 v[vgprValuC+233], v132, s[sgprBeta]     // finalSum = sum*alpha + C*beta
v_cmp_u_f32 s[52:53], v[vgprValuC+233], v[vgprValuC+233] // check Nan
v_bfe_u32 v134, v[vgprValuC+233], 16, 1            // Non-Nan case: store lsb of bf16
v_add3_u32 v134, v[vgprValuC+233], v134, v137      // Non-Nan case: add lsb and the increment for rounding
v_cndmask_b32 v[vgprValuC+233], v134, v136, s[52:53] // 
v_lshrrev_b32 v[vgprValuC+233], 16, v[vgprValuC+233] // convert C to bf16
_buffer_store_b16 v233, v231, s[sgprSrdD:sgprSrdD+3], 0, offen, offset:0,  glc slc // store D
v_lshlrev_b32 v132, 16, v235                       // convert bf16 to fp32
_v_mac_f32 v[vgprValuC+236], v132, s[sgprBeta]     // finalSum = sum*alpha + C*beta
v_cmp_u_f32 s[52:53], v[vgprValuC+236], v[vgprValuC+236] // check Nan
v_bfe_u32 v134, v[vgprValuC+236], 16, 1            // Non-Nan case: store lsb of bf16
v_add3_u32 v134, v[vgprValuC+236], v134, v137      // Non-Nan case: add lsb and the increment for rounding
v_cndmask_b32 v[vgprValuC+236], v134, v136, s[52:53] // 
v_lshrrev_b32 v[vgprValuC+236], 16, v[vgprValuC+236] // convert C to bf16
_buffer_store_b16 v236, v234, s[sgprSrdD:sgprSrdD+3], 0, offen, offset:0,  glc slc // store D
v_lshlrev_b32 v132, 16, v238                       // convert bf16 to fp32
_v_mac_f32 v[vgprValuC+239], v132, s[sgprBeta]     // finalSum = sum*alpha + C*beta
v_cmp_u_f32 s[52:53], v[vgprValuC+239], v[vgprValuC+239] // check Nan
v_bfe_u32 v134, v[vgprValuC+239], 16, 1            // Non-Nan case: store lsb of bf16
v_add3_u32 v134, v[vgprValuC+239], v134, v137      // Non-Nan case: add lsb and the increment for rounding
v_cndmask_b32 v[vgprValuC+239], v134, v136, s[52:53] // 
v_lshrrev_b32 v[vgprValuC+239], 16, v[vgprValuC+239] // convert C to bf16
_buffer_store_b16 v239, v237, s[sgprSrdD:sgprSrdD+3], 0, offen, offset:0,  glc slc // store D
v_lshlrev_b32 v132, 16, v241                       // convert bf16 to fp32
_v_mac_f32 v[vgprValuC+242], v132, s[sgprBeta]     // finalSum = sum*alpha + C*beta
v_cmp_u_f32 s[52:53], v[vgprValuC+242], v[vgprValuC+242] // check Nan
v_bfe_u32 v134, v[vgprValuC+242], 16, 1            // Non-Nan case: store lsb of bf16
v_add3_u32 v134, v[vgprValuC+242], v134, v137      // Non-Nan case: add lsb and the increment for rounding
v_cndmask_b32 v[vgprValuC+242], v134, v136, s[52:53] // 
v_lshrrev_b32 v[vgprValuC+242], 16, v[vgprValuC+242] // convert C to bf16
_buffer_store_b16 v242, v240, s[sgprSrdD:sgprSrdD+3], 0, offen, offset:0,  glc slc // store D
v_lshlrev_b32 v132, 16, v244                       // convert bf16 to fp32
_v_mac_f32 v[vgprValuC+245], v132, s[sgprBeta]     // finalSum = sum*alpha + C*beta
v_cmp_u_f32 s[52:53], v[vgprValuC+245], v[vgprValuC+245] // check Nan
v_bfe_u32 v134, v[vgprValuC+245], 16, 1            // Non-Nan case: store lsb of bf16
v_add3_u32 v134, v[vgprValuC+245], v134, v137      // Non-Nan case: add lsb and the increment for rounding
v_cndmask_b32 v[vgprValuC+245], v134, v136, s[52:53] // 
v_lshrrev_b32 v[vgprValuC+245], 16, v[vgprValuC+245] // convert C to bf16
_buffer_store_b16 v245, v243, s[sgprSrdD:sgprSrdD+3], 0, offen, offset:0,  glc slc // store D
v_lshlrev_b32 v132, 16, v247                       // convert bf16 to fp32
_v_mac_f32 v[vgprValuC+248], v132, s[sgprBeta]     // finalSum = sum*alpha + C*beta
v_cmp_u_f32 s[52:53], v[vgprValuC+248], v[vgprValuC+248] // check Nan
v_bfe_u32 v134, v[vgprValuC+248], 16, 1            // Non-Nan case: store lsb of bf16
v_add3_u32 v134, v[vgprValuC+248], v134, v137      // Non-Nan case: add lsb and the increment for rounding
v_cndmask_b32 v[vgprValuC+248], v134, v136, s[52:53] // 
v_lshrrev_b32 v[vgprValuC+248], 16, v[vgprValuC+248] // convert C to bf16
_buffer_store_b16 v248, v246, s[sgprSrdD:sgprSrdD+3], 0, offen, offset:0,  glc slc // store D
v_lshlrev_b32 v132, 16, v250                       // convert bf16 to fp32
_v_mac_f32 v[vgprValuC+251], v132, s[sgprBeta]     // finalSum = sum*alpha + C*beta
v_cmp_u_f32 s[52:53], v[vgprValuC+251], v[vgprValuC+251] // check Nan
v_bfe_u32 v134, v[vgprValuC+251], 16, 1            // Non-Nan case: store lsb of bf16
v_add3_u32 v134, v[vgprValuC+251], v134, v137      // Non-Nan case: add lsb and the increment for rounding
v_cndmask_b32 v[vgprValuC+251], v134, v136, s[52:53] // 
v_lshrrev_b32 v[vgprValuC+251], 16, v[vgprValuC+251] // convert C to bf16
_buffer_store_b16 v251, v249, s[sgprSrdD:sgprSrdD+3], 0, offen, offset:0,  glc slc // store D
v_lshlrev_b32 v132, 16, v253                       // convert bf16 to fp32
_v_mac_f32 v[vgprValuC+254], v132, s[sgprBeta]     // finalSum = sum*alpha + C*beta
v_cmp_u_f32 s[52:53], v[vgprValuC+254], v[vgprValuC+254] // check Nan
v_bfe_u32 v134, v[vgprValuC+254], 16, 1            // Non-Nan case: store lsb of bf16
v_add3_u32 v134, v[vgprValuC+254], v134, v137      // Non-Nan case: add lsb and the increment for rounding
v_cndmask_b32 v[vgprValuC+254], v134, v136, s[52:53] // 
v_lshrrev_b32 v[vgprValuC+254], 16, v[vgprValuC+254] // convert C to bf16
_buffer_store_b16 v254, v252, s[sgprSrdD:sgprSrdD+3], 0, offen, offset:0,  glc slc // store D
s_nop 0                                            // 1 wait state required when next inst writes vgprs held by previous dwordx4 store inst
/* optSingleColVgpr=0 optSharedColVgpr=0 optSGPRUsage=BufferLoad_Edge_Mask optSrdIncForRow=0 */

/******************************************/
/* Global Write Alpha Beta Edge Batch #3 (d1,d0,vc1,vc0) = */
/*    (7,0,1,0:vw1); (7,0,1,1:vw1); (7,0,2,0:vw1); (7,0,2,1:vw1); (7,0,3,0:vw1); (7,0,3,1:vw1); (7,0,4,0:vw1); (7,0,4,1:vw1); (7,0,5,0:vw1); (7,0,5,1:vw1); (7,0,6,0:vw1); (7,0,6,1:vw1); (7,0,7,0:vw1); (7,0,7,1:vw1) */
/******************************************/

/* calc coords, apply mask, and issue loads (if necessary) */
/* (d1,vc1,d0,vc0)=(7,1,0,0) */
_v_add_co_u32 v129, vcc, v129, 1                   // coord1.1: coord1Vgpr += d1*sg1*VW + vc1

/* Fix for UseInitialStridesCD, emitAddressSetupCode */
_v_add_u32 v130, v130, s[sgprStrideC1J]            // ROWINC- Move cinRowPtr to next row
_v_add_u32 v131, v131, s[sgprStrideD1J]            // Move coutRowPtr to next row
v_cmp_lt_u32 s[52:53], v128, s[sgprSizeI]          // coord0 < size0
v_cmp_lt_u32 s[56:57], v129, s[sgprSizeJ]          // coord1 < size1
s_and_b64 s[56:57], s[52:53], s[56:57]             // in0 && in1
_v_add_lshl_u32 v138, v130, v128, 0x1              // scaleToBpe: accumulate d0 lower and *= bpe into Cin addr
v_cndmask_b32 v138, -1, v138, s[56:57]             // LDC clip if OOB. offset
_buffer_load_d16_b16 v139, v138, s[sgprSrdC:sgprSrdC+3], 0, offen offset:0,  glc slc // load C for beta calc
_v_add_lshl_u32 v138, v131, v128, 0x1              // scaleToBpe: accumulate d0 lower and *= bpe into Cin addr
v_cndmask_b32 v138, -1, v138, s[56:57]             // LDD clip if OOB. offset
/* (d1,vc1,d0,vc0)=(7,1,0,1) */
_v_add_co_u32 v132, vcc, v128, 1                   // coord0.1: coord0 += d0*sg0*VW + vc0
v_cmp_lt_u32 s[52:53], v132, s[sgprSizeI]          // coord0 < size0
v_cmp_lt_u32 s[56:57], v129, s[sgprSizeJ]          // coord1 < size1
s_and_b64 s[56:57], s[52:53], s[56:57]             // in0 && in1
_v_add_lshl_u32 v141, v130, v132, 0x1              // scaleToBpe: accumulate d0 lower and *= bpe into Cin addr
v_cndmask_b32 v141, -1, v141, s[56:57]             // LDC clip if OOB. offset
_buffer_load_d16_b16 v142, v141, s[sgprSrdC:sgprSrdC+3], 0, offen offset:0,  glc slc // load C for beta calc
_v_add_lshl_u32 v141, v131, v132, 0x1              // scaleToBpe: accumulate d0 lower and *= bpe into Cin addr
v_cndmask_b32 v141, -1, v141, s[56:57]             // LDD clip if OOB. offset
/* (d1,vc1,d0,vc0)=(7,2,0,0) */
_v_add_co_u32 v129, vcc, v129, 1                   // coord1.1: coord1Vgpr += d1*sg1*VW + vc1

/* Fix for UseInitialStridesCD, emitAddressSetupCode */
_v_add_u32 v130, v130, s[sgprStrideC1J]            // ROWINC- Move cinRowPtr to next row
_v_add_u32 v131, v131, s[sgprStrideD1J]            // Move coutRowPtr to next row
v_cmp_lt_u32 s[52:53], v128, s[sgprSizeI]          // coord0 < size0
v_cmp_lt_u32 s[56:57], v129, s[sgprSizeJ]          // coord1 < size1
s_and_b64 s[56:57], s[52:53], s[56:57]             // in0 && in1
_v_add_lshl_u32 v144, v130, v128, 0x1              // scaleToBpe: accumulate d0 lower and *= bpe into Cin addr
v_cndmask_b32 v144, -1, v144, s[56:57]             // LDC clip if OOB. offset
_buffer_load_d16_b16 v145, v144, s[sgprSrdC:sgprSrdC+3], 0, offen offset:0,  glc slc // load C for beta calc
_v_add_lshl_u32 v144, v131, v128, 0x1              // scaleToBpe: accumulate d0 lower and *= bpe into Cin addr
v_cndmask_b32 v144, -1, v144, s[56:57]             // LDD clip if OOB. offset
/* (d1,vc1,d0,vc0)=(7,2,0,1) */
_v_add_co_u32 v132, vcc, v128, 1                   // coord0.1: coord0 += d0*sg0*VW + vc0
v_cmp_lt_u32 s[52:53], v132, s[sgprSizeI]          // coord0 < size0
v_cmp_lt_u32 s[56:57], v129, s[sgprSizeJ]          // coord1 < size1
s_and_b64 s[56:57], s[52:53], s[56:57]             // in0 && in1
_v_add_lshl_u32 v147, v130, v132, 0x1              // scaleToBpe: accumulate d0 lower and *= bpe into Cin addr
v_cndmask_b32 v147, -1, v147, s[56:57]             // LDC clip if OOB. offset
_buffer_load_d16_b16 v148, v147, s[sgprSrdC:sgprSrdC+3], 0, offen offset:0,  glc slc // load C for beta calc
_v_add_lshl_u32 v147, v131, v132, 0x1              // scaleToBpe: accumulate d0 lower and *= bpe into Cin addr
v_cndmask_b32 v147, -1, v147, s[56:57]             // LDD clip if OOB. offset
	;; [unrolled: 24-line block ×7, first 2 shown]

/* rC *= alpha batchElements=[(7, 0, 1, 0), (7, 0, 1, 1), (7, 0, 2, 0), (7, 0, 2, 1), (7, 0, 3, 0), (7, 0, 3, 1), (7, 0, 4, 0), (7, 0, 4, 1), (7, 0, 5, 0), (7, 0, 5, 1), (7, 0, 6, 0), (7, 0, 6, 1), (7, 0, 7, 0), (7, 0, 7, 1)] */
v_mul_f32 v[vgprValuC+140], s[sgprAlpha], v[vgprValuC+108] // Multiply MI out reg with alpha
v_mul_f32 v[vgprValuC+143], s[sgprAlpha], v[vgprValuC+124] // Multiply MI out reg with alpha
	;; [unrolled: 1-line block ×14, first 2 shown]
s_waitcnt vmcnt(0)                                 // wait C

/* apply mask, calc new C and issue writes */
v_mov_b32 v135, 0xffff0000                         // mask for pack two bfloat16 element to 32bit
v_mov_b32 v136, 0x7fff0000                         // fp32 Nan
v_mov_b32 v137, 0x7fff                             // rounding bias for bfloat16
v_lshlrev_b32 v132, 16, v139                       // convert bf16 to fp32
_v_mac_f32 v[vgprValuC+140], v132, s[sgprBeta]     // finalSum = sum*alpha + C*beta
v_cmp_u_f32 s[52:53], v[vgprValuC+140], v[vgprValuC+140] // check Nan
v_bfe_u32 v134, v[vgprValuC+140], 16, 1            // Non-Nan case: store lsb of bf16
v_add3_u32 v134, v[vgprValuC+140], v134, v137      // Non-Nan case: add lsb and the increment for rounding
v_cndmask_b32 v[vgprValuC+140], v134, v136, s[52:53] // 
v_lshrrev_b32 v[vgprValuC+140], 16, v[vgprValuC+140] // convert C to bf16
_buffer_store_b16 v140, v138, s[sgprSrdD:sgprSrdD+3], 0, offen, offset:0,  glc slc // store D
v_lshlrev_b32 v132, 16, v142                       // convert bf16 to fp32
_v_mac_f32 v[vgprValuC+143], v132, s[sgprBeta]     // finalSum = sum*alpha + C*beta
v_cmp_u_f32 s[52:53], v[vgprValuC+143], v[vgprValuC+143] // check Nan
v_bfe_u32 v134, v[vgprValuC+143], 16, 1            // Non-Nan case: store lsb of bf16
v_add3_u32 v134, v[vgprValuC+143], v134, v137      // Non-Nan case: add lsb and the increment for rounding
v_cndmask_b32 v[vgprValuC+143], v134, v136, s[52:53] // 
v_lshrrev_b32 v[vgprValuC+143], 16, v[vgprValuC+143] // convert C to bf16
_buffer_store_b16 v143, v141, s[sgprSrdD:sgprSrdD+3], 0, offen, offset:0,  glc slc // store D
	;; [unrolled: 8-line block ×14, first 2 shown]
s_nop 0                                            // 1 wait state required when next inst writes vgprs held by previous dwordx4 store inst
s_branch label_GW_End_202                          // jump to end
label_GW_End_202:

label_0207:  /// KernelEnd
s_endpgm                                           // Kernel End

